;; amdgpu-corpus repo=pytorch/pytorch kind=compiled arch=gfx1100 opt=O3
	.text
	.amdgcn_target "amdgcn-amd-amdhsa--gfx1100"
	.amdhsa_code_object_version 6
	.section	.text._ZN2at6native12_GLOBAL__N_132weight_norm_fwd_first_dim_kernelIddEEvPT_PT0_PKS3_S8_i,"axG",@progbits,_ZN2at6native12_GLOBAL__N_132weight_norm_fwd_first_dim_kernelIddEEvPT_PT0_PKS3_S8_i,comdat
	.globl	_ZN2at6native12_GLOBAL__N_132weight_norm_fwd_first_dim_kernelIddEEvPT_PT0_PKS3_S8_i ; -- Begin function _ZN2at6native12_GLOBAL__N_132weight_norm_fwd_first_dim_kernelIddEEvPT_PT0_PKS3_S8_i
	.p2align	8
	.type	_ZN2at6native12_GLOBAL__N_132weight_norm_fwd_first_dim_kernelIddEEvPT_PT0_PKS3_S8_i,@function
_ZN2at6native12_GLOBAL__N_132weight_norm_fwd_first_dim_kernelIddEEvPT_PT0_PKS3_S8_i: ; @_ZN2at6native12_GLOBAL__N_132weight_norm_fwd_first_dim_kernelIddEEvPT_PT0_PKS3_S8_i
; %bb.0:
	s_clause 0x2
	s_load_b32 s16, s[0:1], 0x20
	s_load_b32 s3, s[0:1], 0x34
	s_load_b256 s[4:11], s[0:1], 0x0
	v_and_b32_e32 v7, 0x3ff, v0
	v_mov_b32_e32 v3, 0
	v_mov_b32_e32 v4, 0
	s_add_u32 s14, s0, 40
	s_mov_b32 s12, s15
	s_waitcnt lgkmcnt(0)
	s_mul_i32 s2, s15, s16
	s_addc_u32 s15, s1, 0
	v_add_nc_u32_e32 v1, s2, v7
	v_cmp_gt_i32_e64 s2, s16, v7
	s_and_b32 s1, s3, 0xffff
	s_delay_alu instid0(VALU_DEP_2) | instskip(NEXT) | instid1(VALU_DEP_2)
	v_ashrrev_i32_e32 v2, 31, v1
	s_and_saveexec_b32 s3, s2
	s_cbranch_execz .LBB0_4
; %bb.1:
	s_delay_alu instid0(VALU_DEP_1) | instskip(SKIP_4) | instid1(VALU_DEP_3)
	v_lshlrev_b64 v[5:6], 3, v[1:2]
	v_dual_mov_b32 v3, 0 :: v_dual_mov_b32 v8, v7
	v_mov_b32_e32 v4, 0
	s_lshl_b32 s17, s1, 3
	s_mov_b32 s13, 0
	v_add_co_u32 v5, vcc_lo, s8, v5
	v_add_co_ci_u32_e32 v6, vcc_lo, s9, v6, vcc_lo
.LBB0_2:                                ; =>This Inner Loop Header: Depth=1
	global_load_b64 v[9:10], v[5:6], off
	v_add_nc_u32_e32 v8, s1, v8
	v_add_co_u32 v5, s0, v5, s17
	s_delay_alu instid0(VALU_DEP_1) | instskip(NEXT) | instid1(VALU_DEP_3)
	v_add_co_ci_u32_e64 v6, s0, 0, v6, s0
	v_cmp_le_i32_e32 vcc_lo, s16, v8
	s_or_b32 s13, vcc_lo, s13
	s_waitcnt vmcnt(0)
	v_fma_f64 v[3:4], v[9:10], v[9:10], v[3:4]
	s_and_not1_b32 exec_lo, exec_lo, s13
	s_cbranch_execnz .LBB0_2
; %bb.3:
	s_or_b32 exec_lo, exec_lo, s13
.LBB0_4:
	s_delay_alu instid0(SALU_CYCLE_1) | instskip(SKIP_2) | instid1(VALU_DEP_1)
	s_or_b32 exec_lo, exec_lo, s3
	s_load_b32 s0, s[14:15], 0xc
	v_bfe_u32 v0, v0, 10, 10
	v_mad_u32_u24 v0, v0, s1, v7
	s_waitcnt lgkmcnt(0)
	s_lshr_b32 s0, s0, 16
	s_delay_alu instid0(SALU_CYCLE_1) | instskip(NEXT) | instid1(SALU_CYCLE_1)
	s_mul_i32 s0, s0, s1
	s_cmp_gt_i32 s0, 63
	s_cselect_b32 s3, -1, 0
	s_cmp_lt_i32 s0, 64
	s_cbranch_scc1 .LBB0_6
; %bb.5:
	v_lshl_add_u32 v5, v0, 3, 0
	ds_store_b64 v5, v[3:4]
	s_waitcnt lgkmcnt(0)
	s_barrier
	buffer_gl0_inv
.LBB0_6:
	s_ashr_i32 s0, s0, 1
	s_delay_alu instid0(SALU_CYCLE_1)
	s_cmp_lt_i32 s0, 64
	s_cbranch_scc1 .LBB0_11
; %bb.7:
	v_lshl_add_u32 v5, v0, 3, 0
	s_branch .LBB0_9
	.p2align	6
.LBB0_8:                                ;   in Loop: Header=BB0_9 Depth=1
	s_or_b32 exec_lo, exec_lo, s13
	s_lshr_b32 s13, s0, 1
	s_cmpk_lt_u32 s0, 0x80
	s_mov_b32 s0, s13
	s_waitcnt lgkmcnt(0)
	s_barrier
	buffer_gl0_inv
	s_cbranch_scc1 .LBB0_11
.LBB0_9:                                ; =>This Inner Loop Header: Depth=1
	s_mov_b32 s13, exec_lo
	v_cmpx_gt_i32_e64 s0, v0
	s_cbranch_execz .LBB0_8
; %bb.10:                               ;   in Loop: Header=BB0_9 Depth=1
	v_lshl_add_u32 v6, s0, 3, v5
	ds_load_b64 v[8:9], v5
	ds_load_b64 v[10:11], v6
	s_waitcnt lgkmcnt(0)
	v_add_f64 v[8:9], v[8:9], v[10:11]
	ds_store_b64 v5, v[8:9]
	s_branch .LBB0_8
.LBB0_11:
	s_mov_b32 s0, exec_lo
	v_cmpx_gt_u32_e32 32, v0
	s_cbranch_execz .LBB0_16
; %bb.12:
	s_and_not1_b32 vcc_lo, exec_lo, s3
	s_cbranch_vccnz .LBB0_14
; %bb.13:
	v_lshl_add_u32 v3, v0, 3, 0
	ds_load_2addr_b64 v[3:6], v3 offset1:32
	s_waitcnt lgkmcnt(0)
	v_add_f64 v[3:4], v[3:4], v[5:6]
.LBB0_14:
	v_mbcnt_lo_u32_b32 v8, -1, 0
	s_delay_alu instid0(VALU_DEP_1) | instskip(SKIP_2) | instid1(VALU_DEP_2)
	v_cmp_gt_u32_e32 vcc_lo, 16, v8
	v_cndmask_b32_e64 v5, 0, 1, vcc_lo
	v_cmp_gt_u32_e32 vcc_lo, 24, v8
	v_lshlrev_b32_e32 v5, 4, v5
	s_delay_alu instid0(VALU_DEP_1)
	v_add_lshl_u32 v6, v5, v8, 2
	ds_bpermute_b32 v5, v6, v3
	ds_bpermute_b32 v6, v6, v4
	s_waitcnt lgkmcnt(0)
	v_add_f64 v[3:4], v[3:4], v[5:6]
	v_cndmask_b32_e64 v5, 0, 1, vcc_lo
	v_cmp_gt_u32_e32 vcc_lo, 28, v8
	s_delay_alu instid0(VALU_DEP_2) | instskip(NEXT) | instid1(VALU_DEP_1)
	v_lshlrev_b32_e32 v5, 3, v5
	v_add_lshl_u32 v6, v5, v8, 2
	ds_bpermute_b32 v5, v6, v3
	ds_bpermute_b32 v6, v6, v4
	s_waitcnt lgkmcnt(0)
	v_add_f64 v[3:4], v[3:4], v[5:6]
	v_cndmask_b32_e64 v5, 0, 1, vcc_lo
	v_cmp_gt_u32_e32 vcc_lo, 30, v8
	s_delay_alu instid0(VALU_DEP_2) | instskip(NEXT) | instid1(VALU_DEP_1)
	v_lshlrev_b32_e32 v5, 2, v5
	v_add_lshl_u32 v6, v5, v8, 2
	ds_bpermute_b32 v5, v6, v3
	ds_bpermute_b32 v6, v6, v4
	s_waitcnt lgkmcnt(0)
	v_add_f64 v[3:4], v[3:4], v[5:6]
	v_cndmask_b32_e64 v5, 0, 1, vcc_lo
	v_cmp_ne_u32_e32 vcc_lo, 31, v8
	s_delay_alu instid0(VALU_DEP_2) | instskip(NEXT) | instid1(VALU_DEP_1)
	v_lshlrev_b32_e32 v5, 1, v5
	v_add_lshl_u32 v6, v5, v8, 2
	ds_bpermute_b32 v5, v6, v3
	ds_bpermute_b32 v6, v6, v4
	s_waitcnt lgkmcnt(0)
	v_add_f64 v[3:4], v[3:4], v[5:6]
	v_add_co_ci_u32_e32 v5, vcc_lo, 0, v8, vcc_lo
	v_cmp_eq_u32_e32 vcc_lo, 0, v0
	s_delay_alu instid0(VALU_DEP_2)
	v_lshlrev_b32_e32 v6, 2, v5
	ds_bpermute_b32 v5, v6, v3
	ds_bpermute_b32 v6, v6, v4
	s_and_b32 exec_lo, exec_lo, vcc_lo
	s_cbranch_execz .LBB0_16
; %bb.15:
	s_waitcnt lgkmcnt(0)
	v_add_f64 v[3:4], v[3:4], v[5:6]
	v_mov_b32_e32 v0, 0
	ds_store_b64 v0, v[3:4]
.LBB0_16:
	s_or_b32 exec_lo, exec_lo, s0
	v_mov_b32_e32 v0, 0
	s_waitcnt lgkmcnt(0)
	s_barrier
	buffer_gl0_inv
	s_ashr_i32 s13, s12, 31
	ds_load_b64 v[3:4], v0
	s_waitcnt lgkmcnt(0)
	v_cvt_f32_f64_e32 v3, v[3:4]
	s_delay_alu instid0(VALU_DEP_1) | instskip(SKIP_1) | instid1(VALU_DEP_2)
	v_mul_f32_e32 v4, 0x4f800000, v3
	v_cmp_gt_f32_e32 vcc_lo, 0xf800000, v3
	v_cndmask_b32_e32 v3, v3, v4, vcc_lo
	s_delay_alu instid0(VALU_DEP_1) | instskip(SKIP_3) | instid1(VALU_DEP_2)
	v_sqrt_f32_e32 v4, v3
	s_waitcnt_depctr 0xfff
	v_add_nc_u32_e32 v5, -1, v4
	v_add_nc_u32_e32 v6, 1, v4
	v_fma_f32 v8, -v5, v4, v3
	s_delay_alu instid0(VALU_DEP_2) | instskip(NEXT) | instid1(VALU_DEP_2)
	v_fma_f32 v9, -v6, v4, v3
	v_cmp_ge_f32_e64 s0, 0, v8
	s_delay_alu instid0(VALU_DEP_1) | instskip(NEXT) | instid1(VALU_DEP_3)
	v_cndmask_b32_e64 v4, v4, v5, s0
	v_cmp_lt_f32_e64 s0, 0, v9
	s_delay_alu instid0(VALU_DEP_1) | instskip(SKIP_1) | instid1(VALU_DEP_1)
	v_cndmask_b32_e64 v4, v4, v6, s0
	s_mov_b32 s0, exec_lo
	v_mul_f32_e32 v5, 0x37800000, v4
	s_delay_alu instid0(VALU_DEP_1) | instskip(SKIP_1) | instid1(VALU_DEP_2)
	v_cndmask_b32_e32 v4, v4, v5, vcc_lo
	v_cmp_class_f32_e64 vcc_lo, v3, 0x260
	v_cndmask_b32_e32 v3, v4, v3, vcc_lo
	s_delay_alu instid0(VALU_DEP_1)
	v_cvt_f64_f32_e32 v[3:4], v3
	v_cmpx_eq_u32_e32 0, v7
	s_cbranch_execz .LBB0_18
; %bb.17:
	s_lshl_b64 s[14:15], s[12:13], 3
	s_delay_alu instid0(SALU_CYCLE_1)
	s_add_u32 s6, s6, s14
	s_addc_u32 s7, s7, s15
	global_store_b64 v0, v[3:4], s[6:7]
.LBB0_18:
	s_or_b32 exec_lo, exec_lo, s0
	s_and_saveexec_b32 s0, s2
	s_cbranch_execz .LBB0_21
; %bb.19:
	s_delay_alu instid0(VALU_DEP_2)
	v_div_scale_f64 v[5:6], null, v[3:4], v[3:4], 1.0
	s_lshl_b64 s[2:3], s[12:13], 3
	v_lshlrev_b64 v[0:1], 3, v[1:2]
	s_add_u32 s2, s10, s2
	s_addc_u32 s3, s11, s3
	s_lshl_b32 s6, s1, 3
	s_load_b64 s[2:3], s[2:3], 0x0
	s_mov_b32 s7, 0
	s_delay_alu instid0(VALU_DEP_2) | instskip(SKIP_2) | instid1(VALU_DEP_1)
	v_rcp_f64_e32 v[8:9], v[5:6]
	s_waitcnt_depctr 0xfff
	v_fma_f64 v[10:11], -v[5:6], v[8:9], 1.0
	v_fma_f64 v[8:9], v[8:9], v[10:11], v[8:9]
	s_delay_alu instid0(VALU_DEP_1) | instskip(NEXT) | instid1(VALU_DEP_1)
	v_fma_f64 v[10:11], -v[5:6], v[8:9], 1.0
	v_fma_f64 v[8:9], v[8:9], v[10:11], v[8:9]
	v_div_scale_f64 v[10:11], vcc_lo, 1.0, v[3:4], 1.0
	s_delay_alu instid0(VALU_DEP_1) | instskip(NEXT) | instid1(VALU_DEP_1)
	v_mul_f64 v[12:13], v[10:11], v[8:9]
	v_fma_f64 v[5:6], -v[5:6], v[12:13], v[10:11]
	s_delay_alu instid0(VALU_DEP_1) | instskip(NEXT) | instid1(VALU_DEP_1)
	v_div_fmas_f64 v[5:6], v[5:6], v[8:9], v[12:13]
	v_div_fixup_f64 v[3:4], v[5:6], v[3:4], 1.0
	.p2align	6
.LBB0_20:                               ; =>This Inner Loop Header: Depth=1
	v_add_co_u32 v5, vcc_lo, s8, v0
	v_add_co_ci_u32_e32 v6, vcc_lo, s9, v1, vcc_lo
	v_add_nc_u32_e32 v7, s1, v7
	v_add_co_u32 v8, vcc_lo, s4, v0
	global_load_b64 v[5:6], v[5:6], off
	v_add_co_ci_u32_e32 v9, vcc_lo, s5, v1, vcc_lo
	v_cmp_le_i32_e32 vcc_lo, s16, v7
	v_add_co_u32 v0, s0, v0, s6
	s_delay_alu instid0(VALU_DEP_1) | instskip(SKIP_3) | instid1(VALU_DEP_1)
	v_add_co_ci_u32_e64 v1, s0, 0, v1, s0
	s_or_b32 s7, vcc_lo, s7
	s_waitcnt vmcnt(0) lgkmcnt(0)
	v_mul_f64 v[5:6], s[2:3], v[5:6]
	v_mul_f64 v[5:6], v[3:4], v[5:6]
	global_store_b64 v[8:9], v[5:6], off
	s_and_not1_b32 exec_lo, exec_lo, s7
	s_cbranch_execnz .LBB0_20
.LBB0_21:
	s_nop 0
	s_sendmsg sendmsg(MSG_DEALLOC_VGPRS)
	s_endpgm
	.section	.rodata,"a",@progbits
	.p2align	6, 0x0
	.amdhsa_kernel _ZN2at6native12_GLOBAL__N_132weight_norm_fwd_first_dim_kernelIddEEvPT_PT0_PKS3_S8_i
		.amdhsa_group_segment_fixed_size 0
		.amdhsa_private_segment_fixed_size 0
		.amdhsa_kernarg_size 296
		.amdhsa_user_sgpr_count 15
		.amdhsa_user_sgpr_dispatch_ptr 0
		.amdhsa_user_sgpr_queue_ptr 0
		.amdhsa_user_sgpr_kernarg_segment_ptr 1
		.amdhsa_user_sgpr_dispatch_id 0
		.amdhsa_user_sgpr_private_segment_size 0
		.amdhsa_wavefront_size32 1
		.amdhsa_uses_dynamic_stack 0
		.amdhsa_enable_private_segment 0
		.amdhsa_system_sgpr_workgroup_id_x 1
		.amdhsa_system_sgpr_workgroup_id_y 0
		.amdhsa_system_sgpr_workgroup_id_z 0
		.amdhsa_system_sgpr_workgroup_info 0
		.amdhsa_system_vgpr_workitem_id 1
		.amdhsa_next_free_vgpr 14
		.amdhsa_next_free_sgpr 18
		.amdhsa_reserve_vcc 1
		.amdhsa_float_round_mode_32 0
		.amdhsa_float_round_mode_16_64 0
		.amdhsa_float_denorm_mode_32 3
		.amdhsa_float_denorm_mode_16_64 3
		.amdhsa_dx10_clamp 1
		.amdhsa_ieee_mode 1
		.amdhsa_fp16_overflow 0
		.amdhsa_workgroup_processor_mode 1
		.amdhsa_memory_ordered 1
		.amdhsa_forward_progress 0
		.amdhsa_shared_vgpr_count 0
		.amdhsa_exception_fp_ieee_invalid_op 0
		.amdhsa_exception_fp_denorm_src 0
		.amdhsa_exception_fp_ieee_div_zero 0
		.amdhsa_exception_fp_ieee_overflow 0
		.amdhsa_exception_fp_ieee_underflow 0
		.amdhsa_exception_fp_ieee_inexact 0
		.amdhsa_exception_int_div_zero 0
	.end_amdhsa_kernel
	.section	.text._ZN2at6native12_GLOBAL__N_132weight_norm_fwd_first_dim_kernelIddEEvPT_PT0_PKS3_S8_i,"axG",@progbits,_ZN2at6native12_GLOBAL__N_132weight_norm_fwd_first_dim_kernelIddEEvPT_PT0_PKS3_S8_i,comdat
.Lfunc_end0:
	.size	_ZN2at6native12_GLOBAL__N_132weight_norm_fwd_first_dim_kernelIddEEvPT_PT0_PKS3_S8_i, .Lfunc_end0-_ZN2at6native12_GLOBAL__N_132weight_norm_fwd_first_dim_kernelIddEEvPT_PT0_PKS3_S8_i
                                        ; -- End function
	.section	.AMDGPU.csdata,"",@progbits
; Kernel info:
; codeLenInByte = 1276
; NumSgprs: 20
; NumVgprs: 14
; ScratchSize: 0
; MemoryBound: 0
; FloatMode: 240
; IeeeMode: 1
; LDSByteSize: 0 bytes/workgroup (compile time only)
; SGPRBlocks: 2
; VGPRBlocks: 1
; NumSGPRsForWavesPerEU: 20
; NumVGPRsForWavesPerEU: 14
; Occupancy: 16
; WaveLimiterHint : 0
; COMPUTE_PGM_RSRC2:SCRATCH_EN: 0
; COMPUTE_PGM_RSRC2:USER_SGPR: 15
; COMPUTE_PGM_RSRC2:TRAP_HANDLER: 0
; COMPUTE_PGM_RSRC2:TGID_X_EN: 1
; COMPUTE_PGM_RSRC2:TGID_Y_EN: 0
; COMPUTE_PGM_RSRC2:TGID_Z_EN: 0
; COMPUTE_PGM_RSRC2:TIDIG_COMP_CNT: 1
	.section	.text._ZN2at6native12_GLOBAL__N_132weight_norm_fwd_first_dim_kernelIffEEvPT_PT0_PKS3_S8_i,"axG",@progbits,_ZN2at6native12_GLOBAL__N_132weight_norm_fwd_first_dim_kernelIffEEvPT_PT0_PKS3_S8_i,comdat
	.globl	_ZN2at6native12_GLOBAL__N_132weight_norm_fwd_first_dim_kernelIffEEvPT_PT0_PKS3_S8_i ; -- Begin function _ZN2at6native12_GLOBAL__N_132weight_norm_fwd_first_dim_kernelIffEEvPT_PT0_PKS3_S8_i
	.p2align	8
	.type	_ZN2at6native12_GLOBAL__N_132weight_norm_fwd_first_dim_kernelIffEEvPT_PT0_PKS3_S8_i,@function
_ZN2at6native12_GLOBAL__N_132weight_norm_fwd_first_dim_kernelIffEEvPT_PT0_PKS3_S8_i: ; @_ZN2at6native12_GLOBAL__N_132weight_norm_fwd_first_dim_kernelIffEEvPT_PT0_PKS3_S8_i
; %bb.0:
	s_clause 0x2
	s_load_b32 s3, s[0:1], 0x20
	s_load_b32 s13, s[0:1], 0x34
	s_load_b256 s[4:11], s[0:1], 0x0
	v_dual_mov_b32 v6, 0 :: v_dual_and_b32 v5, 0x3ff, v0
	s_add_u32 s14, s0, 40
	s_mov_b32 s12, s15
	s_waitcnt lgkmcnt(0)
	s_mul_i32 s2, s15, s3
	s_addc_u32 s15, s1, 0
	v_add_nc_u32_e32 v1, s2, v5
	v_cmp_gt_i32_e64 s2, s3, v5
	s_and_b32 s1, s13, 0xffff
	s_delay_alu instid0(VALU_DEP_2) | instskip(NEXT) | instid1(VALU_DEP_2)
	v_ashrrev_i32_e32 v2, 31, v1
	s_and_saveexec_b32 s13, s2
	s_cbranch_execz .LBB1_4
; %bb.1:
	s_delay_alu instid0(VALU_DEP_1) | instskip(SKIP_3) | instid1(VALU_DEP_2)
	v_lshlrev_b64 v[3:4], 2, v[1:2]
	v_dual_mov_b32 v6, 0 :: v_dual_mov_b32 v7, v5
	s_lshl_b32 s17, s1, 2
	s_mov_b32 s16, 0
	v_add_co_u32 v3, vcc_lo, s8, v3
	s_delay_alu instid0(VALU_DEP_3)
	v_add_co_ci_u32_e32 v4, vcc_lo, s9, v4, vcc_lo
.LBB1_2:                                ; =>This Inner Loop Header: Depth=1
	global_load_b32 v8, v[3:4], off
	v_add_nc_u32_e32 v7, s1, v7
	v_add_co_u32 v3, vcc_lo, v3, s17
	v_add_co_ci_u32_e32 v4, vcc_lo, 0, v4, vcc_lo
	s_waitcnt vmcnt(0)
	v_fmac_f32_e32 v6, v8, v8
	v_cmp_le_i32_e64 s0, s3, v7
	s_delay_alu instid0(VALU_DEP_1) | instskip(NEXT) | instid1(SALU_CYCLE_1)
	s_or_b32 s16, s0, s16
	s_and_not1_b32 exec_lo, exec_lo, s16
	s_cbranch_execnz .LBB1_2
; %bb.3:
	s_or_b32 exec_lo, exec_lo, s16
.LBB1_4:
	s_delay_alu instid0(SALU_CYCLE_1) | instskip(SKIP_2) | instid1(VALU_DEP_1)
	s_or_b32 exec_lo, exec_lo, s13
	s_load_b32 s0, s[14:15], 0xc
	v_bfe_u32 v0, v0, 10, 10
	v_mad_u32_u24 v0, v0, s1, v5
	s_waitcnt lgkmcnt(0)
	s_lshr_b32 s0, s0, 16
	s_delay_alu instid0(SALU_CYCLE_1) | instskip(NEXT) | instid1(SALU_CYCLE_1)
	s_mul_i32 s0, s0, s1
	s_cmp_gt_i32 s0, 63
	s_cselect_b32 s13, -1, 0
	s_cmp_lt_i32 s0, 64
	s_cbranch_scc1 .LBB1_6
; %bb.5:
	v_lshl_add_u32 v3, v0, 2, 0
	ds_store_b32 v3, v6
	s_waitcnt lgkmcnt(0)
	s_barrier
	buffer_gl0_inv
.LBB1_6:
	s_ashr_i32 s0, s0, 1
	s_delay_alu instid0(SALU_CYCLE_1)
	s_cmp_lt_i32 s0, 64
	s_cbranch_scc1 .LBB1_11
; %bb.7:
	v_lshl_add_u32 v3, v0, 2, 0
	s_branch .LBB1_9
	.p2align	6
.LBB1_8:                                ;   in Loop: Header=BB1_9 Depth=1
	s_or_b32 exec_lo, exec_lo, s14
	s_lshr_b32 s14, s0, 1
	s_cmpk_lt_u32 s0, 0x80
	s_mov_b32 s0, s14
	s_waitcnt lgkmcnt(0)
	s_barrier
	buffer_gl0_inv
	s_cbranch_scc1 .LBB1_11
.LBB1_9:                                ; =>This Inner Loop Header: Depth=1
	s_mov_b32 s14, exec_lo
	v_cmpx_gt_i32_e64 s0, v0
	s_cbranch_execz .LBB1_8
; %bb.10:                               ;   in Loop: Header=BB1_9 Depth=1
	v_lshl_add_u32 v4, s0, 2, v3
	ds_load_b32 v7, v3
	ds_load_b32 v4, v4
	s_waitcnt lgkmcnt(0)
	v_add_f32_e32 v4, v7, v4
	ds_store_b32 v3, v4
	s_branch .LBB1_8
.LBB1_11:
	s_mov_b32 s0, exec_lo
	v_cmpx_gt_u32_e32 32, v0
	s_cbranch_execz .LBB1_16
; %bb.12:
	s_and_not1_b32 vcc_lo, exec_lo, s13
	s_cbranch_vccnz .LBB1_14
; %bb.13:
	v_lshl_add_u32 v3, v0, 2, 0
	ds_load_2addr_b32 v[3:4], v3 offset1:32
	s_waitcnt lgkmcnt(0)
	v_add_f32_e32 v6, v3, v4
.LBB1_14:
	v_mbcnt_lo_u32_b32 v3, -1, 0
	s_delay_alu instid0(VALU_DEP_1) | instskip(SKIP_2) | instid1(VALU_DEP_2)
	v_cmp_gt_u32_e32 vcc_lo, 16, v3
	v_cndmask_b32_e64 v4, 0, 1, vcc_lo
	v_cmp_gt_u32_e32 vcc_lo, 24, v3
	v_lshlrev_b32_e32 v4, 4, v4
	v_cndmask_b32_e64 v7, 0, 1, vcc_lo
	v_cmp_gt_u32_e32 vcc_lo, 28, v3
	s_delay_alu instid0(VALU_DEP_3) | instskip(SKIP_3) | instid1(VALU_DEP_1)
	v_add_lshl_u32 v4, v4, v3, 2
	ds_bpermute_b32 v4, v4, v6
	s_waitcnt lgkmcnt(0)
	v_dual_add_f32 v4, v6, v4 :: v_dual_lshlrev_b32 v7, 3, v7
	v_add_lshl_u32 v7, v7, v3, 2
	ds_bpermute_b32 v6, v7, v4
	v_cndmask_b32_e64 v7, 0, 1, vcc_lo
	v_cmp_gt_u32_e32 vcc_lo, 30, v3
	s_waitcnt lgkmcnt(0)
	s_delay_alu instid0(VALU_DEP_2) | instskip(NEXT) | instid1(VALU_DEP_1)
	v_dual_add_f32 v4, v4, v6 :: v_dual_lshlrev_b32 v7, 2, v7
	v_add_lshl_u32 v7, v7, v3, 2
	ds_bpermute_b32 v6, v7, v4
	v_cndmask_b32_e64 v7, 0, 1, vcc_lo
	v_cmp_ne_u32_e32 vcc_lo, 31, v3
	s_waitcnt lgkmcnt(0)
	s_delay_alu instid0(VALU_DEP_2) | instskip(NEXT) | instid1(VALU_DEP_1)
	v_dual_add_f32 v4, v4, v6 :: v_dual_lshlrev_b32 v7, 1, v7
	v_add_lshl_u32 v7, v7, v3, 2
	ds_bpermute_b32 v6, v7, v4
	v_add_co_ci_u32_e32 v7, vcc_lo, 0, v3, vcc_lo
	v_cmp_eq_u32_e32 vcc_lo, 0, v0
	s_waitcnt lgkmcnt(0)
	s_delay_alu instid0(VALU_DEP_2)
	v_dual_add_f32 v3, v4, v6 :: v_dual_lshlrev_b32 v4, 2, v7
	ds_bpermute_b32 v4, v4, v3
	s_and_b32 exec_lo, exec_lo, vcc_lo
	s_cbranch_execz .LBB1_16
; %bb.15:
	s_waitcnt lgkmcnt(0)
	v_dual_add_f32 v0, v3, v4 :: v_dual_mov_b32 v3, 0
	ds_store_b32 v3, v0
.LBB1_16:
	s_or_b32 exec_lo, exec_lo, s0
	v_mov_b32_e32 v0, 0
	s_waitcnt lgkmcnt(0)
	s_barrier
	buffer_gl0_inv
	s_ashr_i32 s13, s12, 31
	ds_load_b32 v3, v0
	s_waitcnt lgkmcnt(0)
	v_mul_f32_e32 v4, 0x4f800000, v3
	v_cmp_gt_f32_e32 vcc_lo, 0xf800000, v3
	s_delay_alu instid0(VALU_DEP_2) | instskip(NEXT) | instid1(VALU_DEP_1)
	v_cndmask_b32_e32 v3, v3, v4, vcc_lo
	v_sqrt_f32_e32 v4, v3
	s_waitcnt_depctr 0xfff
	v_add_nc_u32_e32 v6, -1, v4
	v_add_nc_u32_e32 v7, 1, v4
	s_delay_alu instid0(VALU_DEP_2) | instskip(NEXT) | instid1(VALU_DEP_2)
	v_fma_f32 v8, -v6, v4, v3
	v_fma_f32 v9, -v7, v4, v3
	s_delay_alu instid0(VALU_DEP_2) | instskip(NEXT) | instid1(VALU_DEP_1)
	v_cmp_ge_f32_e64 s0, 0, v8
	v_cndmask_b32_e64 v4, v4, v6, s0
	s_delay_alu instid0(VALU_DEP_3) | instskip(NEXT) | instid1(VALU_DEP_1)
	v_cmp_lt_f32_e64 s0, 0, v9
	v_cndmask_b32_e64 v4, v4, v7, s0
	s_mov_b32 s0, exec_lo
	s_delay_alu instid0(VALU_DEP_1) | instskip(NEXT) | instid1(VALU_DEP_1)
	v_mul_f32_e32 v6, 0x37800000, v4
	v_cndmask_b32_e32 v4, v4, v6, vcc_lo
	v_cmp_class_f32_e64 vcc_lo, v3, 0x260
	s_delay_alu instid0(VALU_DEP_2)
	v_cndmask_b32_e32 v3, v4, v3, vcc_lo
	v_cmpx_eq_u32_e32 0, v5
	s_cbranch_execz .LBB1_18
; %bb.17:
	s_lshl_b64 s[14:15], s[12:13], 2
	s_delay_alu instid0(SALU_CYCLE_1)
	s_add_u32 s6, s6, s14
	s_addc_u32 s7, s7, s15
	global_store_b32 v0, v3, s[6:7]
.LBB1_18:
	s_or_b32 exec_lo, exec_lo, s0
	s_and_saveexec_b32 s0, s2
	s_cbranch_execz .LBB1_21
; %bb.19:
	v_div_scale_f32 v0, null, v3, v3, 1.0
	s_lshl_b64 s[6:7], s[12:13], 2
	s_delay_alu instid0(SALU_CYCLE_1) | instskip(NEXT) | instid1(VALU_DEP_1)
	s_add_u32 s6, s10, s6
	v_rcp_f32_e32 v4, v0
	s_addc_u32 s7, s11, s7
	s_load_b32 s2, s[6:7], 0x0
	s_lshl_b32 s6, s1, 2
	s_mov_b32 s7, 0
	s_waitcnt_depctr 0xfff
	v_fma_f32 v6, -v0, v4, 1.0
	s_delay_alu instid0(VALU_DEP_1) | instskip(SKIP_1) | instid1(VALU_DEP_1)
	v_fmac_f32_e32 v4, v6, v4
	v_div_scale_f32 v6, vcc_lo, 1.0, v3, 1.0
	v_mul_f32_e32 v7, v6, v4
	s_delay_alu instid0(VALU_DEP_1) | instskip(NEXT) | instid1(VALU_DEP_1)
	v_fma_f32 v8, -v0, v7, v6
	v_fmac_f32_e32 v7, v8, v4
	s_delay_alu instid0(VALU_DEP_1) | instskip(NEXT) | instid1(VALU_DEP_1)
	v_fma_f32 v0, -v0, v7, v6
	v_div_fmas_f32 v4, v0, v4, v7
	v_lshlrev_b64 v[0:1], 2, v[1:2]
	s_delay_alu instid0(VALU_DEP_2)
	v_div_fixup_f32 v2, v4, v3, 1.0
	.p2align	6
.LBB1_20:                               ; =>This Inner Loop Header: Depth=1
	s_delay_alu instid0(VALU_DEP_2) | instskip(NEXT) | instid1(VALU_DEP_3)
	v_add_co_u32 v3, vcc_lo, s8, v0
	v_add_co_ci_u32_e32 v4, vcc_lo, s9, v1, vcc_lo
	global_load_b32 v6, v[3:4], off
	v_add_nc_u32_e32 v5, s1, v5
	v_add_co_u32 v3, vcc_lo, s4, v0
	v_add_co_ci_u32_e32 v4, vcc_lo, s5, v1, vcc_lo
	v_add_co_u32 v0, vcc_lo, v0, s6
	v_add_co_ci_u32_e32 v1, vcc_lo, 0, v1, vcc_lo
	s_waitcnt vmcnt(0) lgkmcnt(0)
	v_mul_f32_e32 v6, s2, v6
	v_cmp_le_i32_e64 s0, s3, v5
	s_delay_alu instid0(VALU_DEP_2) | instskip(NEXT) | instid1(VALU_DEP_2)
	v_mul_f32_e32 v6, v2, v6
	s_or_b32 s7, s0, s7
	global_store_b32 v[3:4], v6, off
	s_and_not1_b32 exec_lo, exec_lo, s7
	s_cbranch_execnz .LBB1_20
.LBB1_21:
	s_nop 0
	s_sendmsg sendmsg(MSG_DEALLOC_VGPRS)
	s_endpgm
	.section	.rodata,"a",@progbits
	.p2align	6, 0x0
	.amdhsa_kernel _ZN2at6native12_GLOBAL__N_132weight_norm_fwd_first_dim_kernelIffEEvPT_PT0_PKS3_S8_i
		.amdhsa_group_segment_fixed_size 0
		.amdhsa_private_segment_fixed_size 0
		.amdhsa_kernarg_size 296
		.amdhsa_user_sgpr_count 15
		.amdhsa_user_sgpr_dispatch_ptr 0
		.amdhsa_user_sgpr_queue_ptr 0
		.amdhsa_user_sgpr_kernarg_segment_ptr 1
		.amdhsa_user_sgpr_dispatch_id 0
		.amdhsa_user_sgpr_private_segment_size 0
		.amdhsa_wavefront_size32 1
		.amdhsa_uses_dynamic_stack 0
		.amdhsa_enable_private_segment 0
		.amdhsa_system_sgpr_workgroup_id_x 1
		.amdhsa_system_sgpr_workgroup_id_y 0
		.amdhsa_system_sgpr_workgroup_id_z 0
		.amdhsa_system_sgpr_workgroup_info 0
		.amdhsa_system_vgpr_workitem_id 1
		.amdhsa_next_free_vgpr 10
		.amdhsa_next_free_sgpr 18
		.amdhsa_reserve_vcc 1
		.amdhsa_float_round_mode_32 0
		.amdhsa_float_round_mode_16_64 0
		.amdhsa_float_denorm_mode_32 3
		.amdhsa_float_denorm_mode_16_64 3
		.amdhsa_dx10_clamp 1
		.amdhsa_ieee_mode 1
		.amdhsa_fp16_overflow 0
		.amdhsa_workgroup_processor_mode 1
		.amdhsa_memory_ordered 1
		.amdhsa_forward_progress 0
		.amdhsa_shared_vgpr_count 0
		.amdhsa_exception_fp_ieee_invalid_op 0
		.amdhsa_exception_fp_denorm_src 0
		.amdhsa_exception_fp_ieee_div_zero 0
		.amdhsa_exception_fp_ieee_overflow 0
		.amdhsa_exception_fp_ieee_underflow 0
		.amdhsa_exception_fp_ieee_inexact 0
		.amdhsa_exception_int_div_zero 0
	.end_amdhsa_kernel
	.section	.text._ZN2at6native12_GLOBAL__N_132weight_norm_fwd_first_dim_kernelIffEEvPT_PT0_PKS3_S8_i,"axG",@progbits,_ZN2at6native12_GLOBAL__N_132weight_norm_fwd_first_dim_kernelIffEEvPT_PT0_PKS3_S8_i,comdat
.Lfunc_end1:
	.size	_ZN2at6native12_GLOBAL__N_132weight_norm_fwd_first_dim_kernelIffEEvPT_PT0_PKS3_S8_i, .Lfunc_end1-_ZN2at6native12_GLOBAL__N_132weight_norm_fwd_first_dim_kernelIffEEvPT_PT0_PKS3_S8_i
                                        ; -- End function
	.section	.AMDGPU.csdata,"",@progbits
; Kernel info:
; codeLenInByte = 1168
; NumSgprs: 20
; NumVgprs: 10
; ScratchSize: 0
; MemoryBound: 0
; FloatMode: 240
; IeeeMode: 1
; LDSByteSize: 0 bytes/workgroup (compile time only)
; SGPRBlocks: 2
; VGPRBlocks: 1
; NumSGPRsForWavesPerEU: 20
; NumVGPRsForWavesPerEU: 10
; Occupancy: 16
; WaveLimiterHint : 0
; COMPUTE_PGM_RSRC2:SCRATCH_EN: 0
; COMPUTE_PGM_RSRC2:USER_SGPR: 15
; COMPUTE_PGM_RSRC2:TRAP_HANDLER: 0
; COMPUTE_PGM_RSRC2:TGID_X_EN: 1
; COMPUTE_PGM_RSRC2:TGID_Y_EN: 0
; COMPUTE_PGM_RSRC2:TGID_Z_EN: 0
; COMPUTE_PGM_RSRC2:TIDIG_COMP_CNT: 1
	.section	.text._ZN2at6native12_GLOBAL__N_132weight_norm_fwd_first_dim_kernelIN3c108BFloat16EfEEvPT_PT0_PKS5_SA_i,"axG",@progbits,_ZN2at6native12_GLOBAL__N_132weight_norm_fwd_first_dim_kernelIN3c108BFloat16EfEEvPT_PT0_PKS5_SA_i,comdat
	.globl	_ZN2at6native12_GLOBAL__N_132weight_norm_fwd_first_dim_kernelIN3c108BFloat16EfEEvPT_PT0_PKS5_SA_i ; -- Begin function _ZN2at6native12_GLOBAL__N_132weight_norm_fwd_first_dim_kernelIN3c108BFloat16EfEEvPT_PT0_PKS5_SA_i
	.p2align	8
	.type	_ZN2at6native12_GLOBAL__N_132weight_norm_fwd_first_dim_kernelIN3c108BFloat16EfEEvPT_PT0_PKS5_SA_i,@function
_ZN2at6native12_GLOBAL__N_132weight_norm_fwd_first_dim_kernelIN3c108BFloat16EfEEvPT_PT0_PKS5_SA_i: ; @_ZN2at6native12_GLOBAL__N_132weight_norm_fwd_first_dim_kernelIN3c108BFloat16EfEEvPT_PT0_PKS5_SA_i
; %bb.0:
	s_clause 0x2
	s_load_b32 s14, s[0:1], 0x20
	s_load_b32 s3, s[0:1], 0x34
	s_load_b256 s[4:11], s[0:1], 0x0
	v_dual_mov_b32 v4, 0 :: v_dual_and_b32 v3, 0x3ff, v0
	s_add_u32 s12, s0, 40
	s_mov_b32 s2, s15
	s_addc_u32 s13, s1, 0
	s_waitcnt lgkmcnt(0)
	v_cmp_gt_i32_e64 s0, s14, v3
	s_and_b32 s15, s3, 0xffff
	s_mul_i32 s16, s2, s14
	s_delay_alu instid0(VALU_DEP_1)
	s_and_saveexec_b32 s3, s0
	s_cbranch_execz .LBB2_4
; %bb.1:
	v_dual_mov_b32 v4, 0 :: v_dual_add_nc_u32 v1, s16, v3
	v_mov_b32_e32 v5, v3
	s_lshl_b32 s18, s15, 1
	s_mov_b32 s17, 0
	s_delay_alu instid0(VALU_DEP_2) | instskip(NEXT) | instid1(VALU_DEP_1)
	v_ashrrev_i32_e32 v2, 31, v1
	v_lshlrev_b64 v[1:2], 1, v[1:2]
	s_delay_alu instid0(VALU_DEP_1) | instskip(NEXT) | instid1(VALU_DEP_2)
	v_add_co_u32 v1, vcc_lo, s8, v1
	v_add_co_ci_u32_e32 v2, vcc_lo, s9, v2, vcc_lo
.LBB2_2:                                ; =>This Inner Loop Header: Depth=1
	global_load_u16 v6, v[1:2], off
	v_add_co_u32 v1, vcc_lo, v1, s18
	v_add_co_ci_u32_e32 v2, vcc_lo, 0, v2, vcc_lo
	s_waitcnt vmcnt(0)
	v_lshlrev_b32_e32 v6, 16, v6
	s_delay_alu instid0(VALU_DEP_1) | instskip(NEXT) | instid1(VALU_DEP_1)
	v_dual_fmac_f32 v4, v6, v6 :: v_dual_add_nc_u32 v5, s15, v5
	v_cmp_le_i32_e64 s1, s14, v5
	s_delay_alu instid0(VALU_DEP_1) | instskip(NEXT) | instid1(SALU_CYCLE_1)
	s_or_b32 s17, s1, s17
	s_and_not1_b32 exec_lo, exec_lo, s17
	s_cbranch_execnz .LBB2_2
; %bb.3:
	s_or_b32 exec_lo, exec_lo, s17
.LBB2_4:
	s_delay_alu instid0(SALU_CYCLE_1) | instskip(SKIP_2) | instid1(VALU_DEP_1)
	s_or_b32 exec_lo, exec_lo, s3
	s_load_b32 s1, s[12:13], 0xc
	v_bfe_u32 v0, v0, 10, 10
	v_mad_u32_u24 v0, v0, s15, v3
	s_waitcnt lgkmcnt(0)
	s_lshr_b32 s1, s1, 16
	s_delay_alu instid0(SALU_CYCLE_1) | instskip(NEXT) | instid1(SALU_CYCLE_1)
	s_mul_i32 s1, s1, s15
	s_cmp_gt_i32 s1, 63
	s_cselect_b32 s3, -1, 0
	s_cmp_lt_i32 s1, 64
	s_cbranch_scc1 .LBB2_6
; %bb.5:
	v_lshl_add_u32 v1, v0, 2, 0
	ds_store_b32 v1, v4
	s_waitcnt lgkmcnt(0)
	s_barrier
	buffer_gl0_inv
.LBB2_6:
	s_ashr_i32 s1, s1, 1
	s_delay_alu instid0(SALU_CYCLE_1)
	s_cmp_lt_i32 s1, 64
	s_cbranch_scc1 .LBB2_11
; %bb.7:
	v_lshl_add_u32 v1, v0, 2, 0
	s_branch .LBB2_9
	.p2align	6
.LBB2_8:                                ;   in Loop: Header=BB2_9 Depth=1
	s_or_b32 exec_lo, exec_lo, s12
	s_lshr_b32 s12, s1, 1
	s_cmpk_lt_u32 s1, 0x80
	s_mov_b32 s1, s12
	s_waitcnt lgkmcnt(0)
	s_barrier
	buffer_gl0_inv
	s_cbranch_scc1 .LBB2_11
.LBB2_9:                                ; =>This Inner Loop Header: Depth=1
	s_mov_b32 s12, exec_lo
	v_cmpx_gt_i32_e64 s1, v0
	s_cbranch_execz .LBB2_8
; %bb.10:                               ;   in Loop: Header=BB2_9 Depth=1
	v_lshl_add_u32 v2, s1, 2, v1
	ds_load_b32 v5, v1
	ds_load_b32 v2, v2
	s_waitcnt lgkmcnt(0)
	v_add_f32_e32 v2, v5, v2
	ds_store_b32 v1, v2
	s_branch .LBB2_8
.LBB2_11:
	s_mov_b32 s1, exec_lo
	v_cmpx_gt_u32_e32 32, v0
	s_cbranch_execz .LBB2_16
; %bb.12:
	s_and_not1_b32 vcc_lo, exec_lo, s3
	s_cbranch_vccnz .LBB2_14
; %bb.13:
	v_lshl_add_u32 v1, v0, 2, 0
	ds_load_2addr_b32 v[1:2], v1 offset1:32
	s_waitcnt lgkmcnt(0)
	v_add_f32_e32 v4, v1, v2
.LBB2_14:
	v_mbcnt_lo_u32_b32 v1, -1, 0
	s_delay_alu instid0(VALU_DEP_1) | instskip(SKIP_2) | instid1(VALU_DEP_2)
	v_cmp_gt_u32_e32 vcc_lo, 16, v1
	v_cndmask_b32_e64 v2, 0, 1, vcc_lo
	v_cmp_gt_u32_e32 vcc_lo, 24, v1
	v_lshlrev_b32_e32 v2, 4, v2
	v_cndmask_b32_e64 v5, 0, 1, vcc_lo
	v_cmp_gt_u32_e32 vcc_lo, 28, v1
	s_delay_alu instid0(VALU_DEP_3) | instskip(SKIP_3) | instid1(VALU_DEP_1)
	v_add_lshl_u32 v2, v2, v1, 2
	ds_bpermute_b32 v2, v2, v4
	s_waitcnt lgkmcnt(0)
	v_dual_add_f32 v2, v4, v2 :: v_dual_lshlrev_b32 v5, 3, v5
	v_add_lshl_u32 v5, v5, v1, 2
	ds_bpermute_b32 v4, v5, v2
	v_cndmask_b32_e64 v5, 0, 1, vcc_lo
	v_cmp_gt_u32_e32 vcc_lo, 30, v1
	s_waitcnt lgkmcnt(0)
	s_delay_alu instid0(VALU_DEP_2) | instskip(NEXT) | instid1(VALU_DEP_1)
	v_dual_add_f32 v2, v2, v4 :: v_dual_lshlrev_b32 v5, 2, v5
	v_add_lshl_u32 v5, v5, v1, 2
	ds_bpermute_b32 v4, v5, v2
	v_cndmask_b32_e64 v5, 0, 1, vcc_lo
	v_cmp_ne_u32_e32 vcc_lo, 31, v1
	s_waitcnt lgkmcnt(0)
	s_delay_alu instid0(VALU_DEP_2) | instskip(NEXT) | instid1(VALU_DEP_1)
	v_dual_add_f32 v2, v2, v4 :: v_dual_lshlrev_b32 v5, 1, v5
	v_add_lshl_u32 v5, v5, v1, 2
	ds_bpermute_b32 v4, v5, v2
	v_add_co_ci_u32_e32 v5, vcc_lo, 0, v1, vcc_lo
	v_cmp_eq_u32_e32 vcc_lo, 0, v0
	s_waitcnt lgkmcnt(0)
	s_delay_alu instid0(VALU_DEP_2)
	v_dual_add_f32 v1, v2, v4 :: v_dual_lshlrev_b32 v2, 2, v5
	ds_bpermute_b32 v2, v2, v1
	s_and_b32 exec_lo, exec_lo, vcc_lo
	s_cbranch_execz .LBB2_16
; %bb.15:
	s_waitcnt lgkmcnt(0)
	v_dual_add_f32 v0, v1, v2 :: v_dual_mov_b32 v1, 0
	ds_store_b32 v1, v0
.LBB2_16:
	s_or_b32 exec_lo, exec_lo, s1
	v_mov_b32_e32 v1, 0
	s_waitcnt lgkmcnt(0)
	s_barrier
	buffer_gl0_inv
	s_ashr_i32 s3, s2, 31
	ds_load_b32 v0, v1
	s_waitcnt lgkmcnt(0)
	v_mul_f32_e32 v2, 0x4f800000, v0
	v_cmp_gt_f32_e32 vcc_lo, 0xf800000, v0
	s_delay_alu instid0(VALU_DEP_2) | instskip(NEXT) | instid1(VALU_DEP_1)
	v_cndmask_b32_e32 v0, v0, v2, vcc_lo
	v_sqrt_f32_e32 v2, v0
	s_waitcnt_depctr 0xfff
	v_add_nc_u32_e32 v4, -1, v2
	v_add_nc_u32_e32 v5, 1, v2
	s_delay_alu instid0(VALU_DEP_2) | instskip(NEXT) | instid1(VALU_DEP_2)
	v_fma_f32 v6, -v4, v2, v0
	v_fma_f32 v7, -v5, v2, v0
	s_delay_alu instid0(VALU_DEP_2) | instskip(NEXT) | instid1(VALU_DEP_1)
	v_cmp_ge_f32_e64 s1, 0, v6
	v_cndmask_b32_e64 v2, v2, v4, s1
	s_delay_alu instid0(VALU_DEP_3) | instskip(NEXT) | instid1(VALU_DEP_1)
	v_cmp_lt_f32_e64 s1, 0, v7
	v_cndmask_b32_e64 v2, v2, v5, s1
	s_mov_b32 s1, exec_lo
	s_delay_alu instid0(VALU_DEP_1) | instskip(NEXT) | instid1(VALU_DEP_1)
	v_mul_f32_e32 v4, 0x37800000, v2
	v_cndmask_b32_e32 v2, v2, v4, vcc_lo
	v_cmp_class_f32_e64 vcc_lo, v0, 0x260
	s_delay_alu instid0(VALU_DEP_2)
	v_cndmask_b32_e32 v0, v2, v0, vcc_lo
	v_cmpx_eq_u32_e32 0, v3
	s_cbranch_execz .LBB2_18
; %bb.17:
	s_lshl_b64 s[12:13], s[2:3], 2
	s_delay_alu instid0(SALU_CYCLE_1)
	s_add_u32 s6, s6, s12
	s_addc_u32 s7, s7, s13
	global_store_b32 v1, v0, s[6:7]
.LBB2_18:
	s_or_b32 exec_lo, exec_lo, s1
	s_and_saveexec_b32 s1, s0
	s_cbranch_execz .LBB2_26
; %bb.19:
	v_cvt_f32_u32_e32 v2, s15
	s_lshl_b64 s[0:1], s[2:3], 1
	v_div_scale_f32 v7, null, v0, v0, 1.0
	s_add_u32 s0, s10, s0
	s_delay_alu instid0(VALU_DEP_2)
	v_rcp_iflag_f32_e32 v2, v2
	v_mov_b32_e32 v1, 0
	s_addc_u32 s1, s11, s1
	s_mov_b32 s2, 0
	s_waitcnt_depctr 0xfff
	v_mul_f32_e32 v2, 0x4f7ffffe, v2
	global_load_u16 v1, v1, s[0:1]
	s_sub_i32 s0, 0, s15
	s_cmp_eq_u32 s15, 1
	v_cvt_u32_f32_e32 v2, v2
	s_delay_alu instid0(VALU_DEP_1) | instskip(NEXT) | instid1(VALU_DEP_1)
	v_mul_lo_u32 v4, s0, v2
	v_mul_hi_u32 v4, v2, v4
	s_delay_alu instid0(VALU_DEP_1) | instskip(SKIP_3) | instid1(VALU_DEP_1)
	v_add_nc_u32_e32 v2, v2, v4
	v_rcp_f32_e32 v4, v7
	s_waitcnt_depctr 0xfff
	v_fma_f32 v8, -v7, v4, 1.0
	v_dual_fmac_f32 v4, v8, v4 :: v_dual_add_nc_u32 v5, s15, v3
	s_delay_alu instid0(VALU_DEP_1) | instskip(SKIP_3) | instid1(VALU_DEP_2)
	v_cmp_gt_i32_e32 vcc_lo, s14, v5
	v_max_i32_e32 v6, s14, v5
	v_add_co_ci_u32_e64 v5, s0, s15, v3, vcc_lo
	v_div_scale_f32 v9, s0, 1.0, v0, 1.0
	v_sub_nc_u32_e32 v5, v6, v5
	s_delay_alu instid0(VALU_DEP_2) | instskip(NEXT) | instid1(VALU_DEP_2)
	v_mul_f32_e32 v8, v9, v4
	v_mul_hi_u32 v2, v5, v2
	s_delay_alu instid0(VALU_DEP_1) | instskip(NEXT) | instid1(VALU_DEP_1)
	v_mul_lo_u32 v6, v2, s15
	v_sub_nc_u32_e32 v5, v5, v6
	v_add_nc_u32_e32 v6, 1, v2
	s_delay_alu instid0(VALU_DEP_2) | instskip(SKIP_1) | instid1(VALU_DEP_1)
	v_subrev_nc_u32_e32 v10, s15, v5
	v_cmp_le_u32_e64 s1, s15, v5
	v_cndmask_b32_e64 v2, v2, v6, s1
	s_delay_alu instid0(VALU_DEP_3) | instskip(SKIP_1) | instid1(VALU_DEP_3)
	v_cndmask_b32_e64 v5, v5, v10, s1
	v_fma_f32 v6, -v7, v8, v9
	v_add_nc_u32_e32 v10, 1, v2
	s_delay_alu instid0(VALU_DEP_3) | instskip(NEXT) | instid1(VALU_DEP_3)
	v_cmp_le_u32_e64 s1, s15, v5
	v_fmac_f32_e32 v8, v6, v4
	s_delay_alu instid0(VALU_DEP_2) | instskip(NEXT) | instid1(VALU_DEP_2)
	v_cndmask_b32_e64 v2, v2, v10, s1
	v_fma_f32 v6, -v7, v8, v9
	s_delay_alu instid0(VALU_DEP_2) | instskip(SKIP_2) | instid1(VALU_DEP_2)
	v_add_co_ci_u32_e32 v5, vcc_lo, 1, v2, vcc_lo
	s_mov_b32 vcc_lo, s0
	s_cselect_b32 s0, -1, 0
	v_div_fmas_f32 v2, v6, v4, v8
	s_delay_alu instid0(VALU_DEP_2) | instskip(NEXT) | instid1(VALU_DEP_2)
	v_cmp_lt_u32_e32 vcc_lo, 1, v5
	v_div_fixup_f32 v2, v2, v0, 1.0
	s_and_b32 s3, vcc_lo, s0
	s_mov_b32 s0, -1
	s_waitcnt vmcnt(0)
	v_lshlrev_b32_e32 v4, 16, v1
	s_and_saveexec_b32 s1, s3
	s_cbranch_execz .LBB2_23
; %bb.20:
	v_and_b32_e32 v6, -2, v5
	s_delay_alu instid0(VALU_DEP_1)
	v_dual_mov_b32 v7, v6 :: v_dual_add_nc_u32 v0, s16, v3
	s_set_inst_prefetch_distance 0x1
	.p2align	6
.LBB2_21:                               ; =>This Inner Loop Header: Depth=1
	s_delay_alu instid0(VALU_DEP_1) | instskip(NEXT) | instid1(VALU_DEP_2)
	v_ashrrev_i32_e32 v1, 31, v0
	v_add_nc_u32_e32 v7, -2, v7
	s_delay_alu instid0(VALU_DEP_2) | instskip(SKIP_1) | instid1(VALU_DEP_2)
	v_lshlrev_b64 v[8:9], 1, v[0:1]
	v_add_nc_u32_e32 v0, 2, v0
	v_add_co_u32 v10, vcc_lo, s8, v8
	s_delay_alu instid0(VALU_DEP_3) | instskip(SKIP_1) | instid1(VALU_DEP_1)
	v_add_co_ci_u32_e32 v11, vcc_lo, s9, v9, vcc_lo
	v_add_co_u32 v8, s0, s4, v8
	v_add_co_ci_u32_e64 v9, s0, s5, v9, s0
	global_load_b32 v1, v[10:11], off
	s_waitcnt vmcnt(0)
	v_and_b32_e32 v10, 0xffff0000, v1
	s_delay_alu instid0(VALU_DEP_1) | instskip(NEXT) | instid1(VALU_DEP_1)
	v_dual_mul_f32 v10, v4, v10 :: v_dual_lshlrev_b32 v1, 16, v1
	v_dual_mul_f32 v1, v4, v1 :: v_dual_mul_f32 v10, v2, v10
	s_delay_alu instid0(VALU_DEP_1) | instskip(SKIP_1) | instid1(VALU_DEP_2)
	v_bfe_u32 v11, v10, 16, 1
	v_cmp_o_f32_e32 vcc_lo, v10, v10
	v_add3_u32 v11, v10, v11, 0x7fff
	s_delay_alu instid0(VALU_DEP_1) | instskip(NEXT) | instid1(VALU_DEP_1)
	v_lshrrev_b32_e32 v11, 16, v11
	v_dual_mul_f32 v1, v2, v1 :: v_dual_cndmask_b32 v10, 0x7fc0, v11
	s_delay_alu instid0(VALU_DEP_1) | instskip(SKIP_1) | instid1(VALU_DEP_2)
	v_bfe_u32 v12, v1, 16, 1
	v_cmp_o_f32_e32 vcc_lo, v1, v1
	v_add3_u32 v12, v1, v12, 0x7fff
	s_delay_alu instid0(VALU_DEP_1) | instskip(NEXT) | instid1(VALU_DEP_1)
	v_lshrrev_b32_e32 v12, 16, v12
	v_cndmask_b32_e32 v1, 0x7fc0, v12, vcc_lo
	v_cmp_eq_u32_e32 vcc_lo, 0, v7
	s_delay_alu instid0(VALU_DEP_2)
	v_perm_b32 v1, v10, v1, 0x5040100
	s_or_b32 s2, vcc_lo, s2
	global_store_b32 v[8:9], v1, off
	s_and_not1_b32 exec_lo, exec_lo, s2
	s_cbranch_execnz .LBB2_21
; %bb.22:
	s_set_inst_prefetch_distance 0x2
	s_or_b32 exec_lo, exec_lo, s2
	v_cmp_ne_u32_e32 vcc_lo, v5, v6
	v_add_nc_u32_e32 v3, v3, v6
	s_or_not1_b32 s0, vcc_lo, exec_lo
.LBB2_23:
	s_or_b32 exec_lo, exec_lo, s1
	s_delay_alu instid0(SALU_CYCLE_1)
	s_and_b32 exec_lo, exec_lo, s0
	s_cbranch_execz .LBB2_26
; %bb.24:
	v_ashrrev_i32_e32 v1, 31, v3
	s_ashr_i32 s0, s16, 31
	v_add_co_u32 v0, vcc_lo, v3, s16
	s_lshl_b32 s2, s15, 1
	s_delay_alu instid0(VALU_DEP_2) | instskip(SKIP_1) | instid1(VALU_DEP_1)
	v_add_co_ci_u32_e32 v1, vcc_lo, s0, v1, vcc_lo
	s_mov_b32 s3, 0
	v_lshlrev_b64 v[0:1], 1, v[0:1]
	s_set_inst_prefetch_distance 0x1
	.p2align	6
.LBB2_25:                               ; =>This Inner Loop Header: Depth=1
	s_delay_alu instid0(VALU_DEP_1) | instskip(NEXT) | instid1(VALU_DEP_2)
	v_add_co_u32 v5, vcc_lo, s8, v0
	v_add_co_ci_u32_e32 v6, vcc_lo, s9, v1, vcc_lo
	v_add_nc_u32_e32 v3, s15, v3
	global_load_u16 v5, v[5:6], off
	v_cmp_le_i32_e64 s0, s14, v3
	s_delay_alu instid0(VALU_DEP_1) | instskip(SKIP_2) | instid1(VALU_DEP_1)
	s_or_b32 s3, s0, s3
	s_waitcnt vmcnt(0)
	v_lshlrev_b32_e32 v5, 16, v5
	v_mul_f32_e32 v5, v4, v5
	s_delay_alu instid0(VALU_DEP_1) | instskip(NEXT) | instid1(VALU_DEP_1)
	v_mul_f32_e32 v7, v2, v5
	v_bfe_u32 v5, v7, 16, 1
	v_cmp_o_f32_e64 s1, v7, v7
	s_delay_alu instid0(VALU_DEP_2) | instskip(SKIP_2) | instid1(VALU_DEP_3)
	v_add3_u32 v8, v7, v5, 0x7fff
	v_add_co_u32 v5, vcc_lo, s4, v0
	v_add_co_ci_u32_e32 v6, vcc_lo, s5, v1, vcc_lo
	v_lshrrev_b32_e32 v8, 16, v8
	v_add_co_u32 v0, vcc_lo, v0, s2
	v_add_co_ci_u32_e32 v1, vcc_lo, 0, v1, vcc_lo
	s_delay_alu instid0(VALU_DEP_3)
	v_cndmask_b32_e64 v7, 0x7fc0, v8, s1
	global_store_b16 v[5:6], v7, off
	s_and_not1_b32 exec_lo, exec_lo, s3
	s_cbranch_execnz .LBB2_25
.LBB2_26:
	s_set_inst_prefetch_distance 0x2
	s_nop 0
	s_sendmsg sendmsg(MSG_DEALLOC_VGPRS)
	s_endpgm
	.section	.rodata,"a",@progbits
	.p2align	6, 0x0
	.amdhsa_kernel _ZN2at6native12_GLOBAL__N_132weight_norm_fwd_first_dim_kernelIN3c108BFloat16EfEEvPT_PT0_PKS5_SA_i
		.amdhsa_group_segment_fixed_size 0
		.amdhsa_private_segment_fixed_size 0
		.amdhsa_kernarg_size 296
		.amdhsa_user_sgpr_count 15
		.amdhsa_user_sgpr_dispatch_ptr 0
		.amdhsa_user_sgpr_queue_ptr 0
		.amdhsa_user_sgpr_kernarg_segment_ptr 1
		.amdhsa_user_sgpr_dispatch_id 0
		.amdhsa_user_sgpr_private_segment_size 0
		.amdhsa_wavefront_size32 1
		.amdhsa_uses_dynamic_stack 0
		.amdhsa_enable_private_segment 0
		.amdhsa_system_sgpr_workgroup_id_x 1
		.amdhsa_system_sgpr_workgroup_id_y 0
		.amdhsa_system_sgpr_workgroup_id_z 0
		.amdhsa_system_sgpr_workgroup_info 0
		.amdhsa_system_vgpr_workitem_id 1
		.amdhsa_next_free_vgpr 13
		.amdhsa_next_free_sgpr 19
		.amdhsa_reserve_vcc 1
		.amdhsa_float_round_mode_32 0
		.amdhsa_float_round_mode_16_64 0
		.amdhsa_float_denorm_mode_32 3
		.amdhsa_float_denorm_mode_16_64 3
		.amdhsa_dx10_clamp 1
		.amdhsa_ieee_mode 1
		.amdhsa_fp16_overflow 0
		.amdhsa_workgroup_processor_mode 1
		.amdhsa_memory_ordered 1
		.amdhsa_forward_progress 0
		.amdhsa_shared_vgpr_count 0
		.amdhsa_exception_fp_ieee_invalid_op 0
		.amdhsa_exception_fp_denorm_src 0
		.amdhsa_exception_fp_ieee_div_zero 0
		.amdhsa_exception_fp_ieee_overflow 0
		.amdhsa_exception_fp_ieee_underflow 0
		.amdhsa_exception_fp_ieee_inexact 0
		.amdhsa_exception_int_div_zero 0
	.end_amdhsa_kernel
	.section	.text._ZN2at6native12_GLOBAL__N_132weight_norm_fwd_first_dim_kernelIN3c108BFloat16EfEEvPT_PT0_PKS5_SA_i,"axG",@progbits,_ZN2at6native12_GLOBAL__N_132weight_norm_fwd_first_dim_kernelIN3c108BFloat16EfEEvPT_PT0_PKS5_SA_i,comdat
.Lfunc_end2:
	.size	_ZN2at6native12_GLOBAL__N_132weight_norm_fwd_first_dim_kernelIN3c108BFloat16EfEEvPT_PT0_PKS5_SA_i, .Lfunc_end2-_ZN2at6native12_GLOBAL__N_132weight_norm_fwd_first_dim_kernelIN3c108BFloat16EfEEvPT_PT0_PKS5_SA_i
                                        ; -- End function
	.section	.AMDGPU.csdata,"",@progbits
; Kernel info:
; codeLenInByte = 1780
; NumSgprs: 21
; NumVgprs: 13
; ScratchSize: 0
; MemoryBound: 0
; FloatMode: 240
; IeeeMode: 1
; LDSByteSize: 0 bytes/workgroup (compile time only)
; SGPRBlocks: 2
; VGPRBlocks: 1
; NumSGPRsForWavesPerEU: 21
; NumVGPRsForWavesPerEU: 13
; Occupancy: 16
; WaveLimiterHint : 0
; COMPUTE_PGM_RSRC2:SCRATCH_EN: 0
; COMPUTE_PGM_RSRC2:USER_SGPR: 15
; COMPUTE_PGM_RSRC2:TRAP_HANDLER: 0
; COMPUTE_PGM_RSRC2:TGID_X_EN: 1
; COMPUTE_PGM_RSRC2:TGID_Y_EN: 0
; COMPUTE_PGM_RSRC2:TGID_Z_EN: 0
; COMPUTE_PGM_RSRC2:TIDIG_COMP_CNT: 1
	.section	.text._ZN2at6native12_GLOBAL__N_132weight_norm_fwd_first_dim_kernelIN3c104HalfEfEEvPT_PT0_PKS5_SA_i,"axG",@progbits,_ZN2at6native12_GLOBAL__N_132weight_norm_fwd_first_dim_kernelIN3c104HalfEfEEvPT_PT0_PKS5_SA_i,comdat
	.globl	_ZN2at6native12_GLOBAL__N_132weight_norm_fwd_first_dim_kernelIN3c104HalfEfEEvPT_PT0_PKS5_SA_i ; -- Begin function _ZN2at6native12_GLOBAL__N_132weight_norm_fwd_first_dim_kernelIN3c104HalfEfEEvPT_PT0_PKS5_SA_i
	.p2align	8
	.type	_ZN2at6native12_GLOBAL__N_132weight_norm_fwd_first_dim_kernelIN3c104HalfEfEEvPT_PT0_PKS5_SA_i,@function
_ZN2at6native12_GLOBAL__N_132weight_norm_fwd_first_dim_kernelIN3c104HalfEfEEvPT_PT0_PKS5_SA_i: ; @_ZN2at6native12_GLOBAL__N_132weight_norm_fwd_first_dim_kernelIN3c104HalfEfEEvPT_PT0_PKS5_SA_i
; %bb.0:
	s_clause 0x2
	s_load_b32 s14, s[0:1], 0x20
	s_load_b32 s3, s[0:1], 0x34
	s_load_b256 s[4:11], s[0:1], 0x0
	v_dual_mov_b32 v4, 0 :: v_dual_and_b32 v3, 0x3ff, v0
	s_add_u32 s12, s0, 40
	s_mov_b32 s2, s15
	s_addc_u32 s13, s1, 0
	s_waitcnt lgkmcnt(0)
	v_cmp_gt_i32_e64 s0, s14, v3
	s_and_b32 s15, s3, 0xffff
	s_mul_i32 s16, s2, s14
	s_delay_alu instid0(VALU_DEP_1)
	s_and_saveexec_b32 s3, s0
	s_cbranch_execz .LBB3_4
; %bb.1:
	v_dual_mov_b32 v4, 0 :: v_dual_add_nc_u32 v1, s16, v3
	v_mov_b32_e32 v5, v3
	s_lshl_b32 s18, s15, 1
	s_mov_b32 s17, 0
	s_delay_alu instid0(VALU_DEP_2) | instskip(NEXT) | instid1(VALU_DEP_1)
	v_ashrrev_i32_e32 v2, 31, v1
	v_lshlrev_b64 v[1:2], 1, v[1:2]
	s_delay_alu instid0(VALU_DEP_1) | instskip(NEXT) | instid1(VALU_DEP_2)
	v_add_co_u32 v1, vcc_lo, s8, v1
	v_add_co_ci_u32_e32 v2, vcc_lo, s9, v2, vcc_lo
.LBB3_2:                                ; =>This Inner Loop Header: Depth=1
	global_load_u16 v6, v[1:2], off
	v_add_nc_u32_e32 v5, s15, v5
	v_add_co_u32 v1, vcc_lo, v1, s18
	v_add_co_ci_u32_e32 v2, vcc_lo, 0, v2, vcc_lo
	s_delay_alu instid0(VALU_DEP_3) | instskip(NEXT) | instid1(VALU_DEP_1)
	v_cmp_le_i32_e64 s1, s14, v5
	s_or_b32 s17, s1, s17
	s_waitcnt vmcnt(0)
	v_fma_mix_f32 v4, v6, v6, v4 op_sel_hi:[1,1,0]
	s_and_not1_b32 exec_lo, exec_lo, s17
	s_cbranch_execnz .LBB3_2
; %bb.3:
	s_or_b32 exec_lo, exec_lo, s17
.LBB3_4:
	s_delay_alu instid0(SALU_CYCLE_1) | instskip(SKIP_2) | instid1(VALU_DEP_1)
	s_or_b32 exec_lo, exec_lo, s3
	s_load_b32 s1, s[12:13], 0xc
	v_bfe_u32 v0, v0, 10, 10
	v_mad_u32_u24 v0, v0, s15, v3
	s_waitcnt lgkmcnt(0)
	s_lshr_b32 s1, s1, 16
	s_delay_alu instid0(SALU_CYCLE_1) | instskip(NEXT) | instid1(SALU_CYCLE_1)
	s_mul_i32 s1, s1, s15
	s_cmp_gt_i32 s1, 63
	s_cselect_b32 s3, -1, 0
	s_cmp_lt_i32 s1, 64
	s_cbranch_scc1 .LBB3_6
; %bb.5:
	v_lshl_add_u32 v1, v0, 2, 0
	ds_store_b32 v1, v4
	s_waitcnt lgkmcnt(0)
	s_barrier
	buffer_gl0_inv
.LBB3_6:
	s_ashr_i32 s1, s1, 1
	s_delay_alu instid0(SALU_CYCLE_1)
	s_cmp_lt_i32 s1, 64
	s_cbranch_scc1 .LBB3_11
; %bb.7:
	v_lshl_add_u32 v1, v0, 2, 0
	s_branch .LBB3_9
	.p2align	6
.LBB3_8:                                ;   in Loop: Header=BB3_9 Depth=1
	s_or_b32 exec_lo, exec_lo, s12
	s_lshr_b32 s12, s1, 1
	s_cmpk_lt_u32 s1, 0x80
	s_mov_b32 s1, s12
	s_waitcnt lgkmcnt(0)
	s_barrier
	buffer_gl0_inv
	s_cbranch_scc1 .LBB3_11
.LBB3_9:                                ; =>This Inner Loop Header: Depth=1
	s_mov_b32 s12, exec_lo
	v_cmpx_gt_i32_e64 s1, v0
	s_cbranch_execz .LBB3_8
; %bb.10:                               ;   in Loop: Header=BB3_9 Depth=1
	v_lshl_add_u32 v2, s1, 2, v1
	ds_load_b32 v5, v1
	ds_load_b32 v2, v2
	s_waitcnt lgkmcnt(0)
	v_add_f32_e32 v2, v5, v2
	ds_store_b32 v1, v2
	s_branch .LBB3_8
.LBB3_11:
	s_mov_b32 s1, exec_lo
	v_cmpx_gt_u32_e32 32, v0
	s_cbranch_execz .LBB3_16
; %bb.12:
	s_and_not1_b32 vcc_lo, exec_lo, s3
	s_cbranch_vccnz .LBB3_14
; %bb.13:
	v_lshl_add_u32 v1, v0, 2, 0
	ds_load_2addr_b32 v[1:2], v1 offset1:32
	s_waitcnt lgkmcnt(0)
	v_add_f32_e32 v4, v1, v2
.LBB3_14:
	v_mbcnt_lo_u32_b32 v1, -1, 0
	s_delay_alu instid0(VALU_DEP_1) | instskip(SKIP_2) | instid1(VALU_DEP_2)
	v_cmp_gt_u32_e32 vcc_lo, 16, v1
	v_cndmask_b32_e64 v2, 0, 1, vcc_lo
	v_cmp_gt_u32_e32 vcc_lo, 24, v1
	v_lshlrev_b32_e32 v2, 4, v2
	v_cndmask_b32_e64 v5, 0, 1, vcc_lo
	v_cmp_gt_u32_e32 vcc_lo, 28, v1
	s_delay_alu instid0(VALU_DEP_3) | instskip(SKIP_3) | instid1(VALU_DEP_1)
	v_add_lshl_u32 v2, v2, v1, 2
	ds_bpermute_b32 v2, v2, v4
	s_waitcnt lgkmcnt(0)
	v_dual_add_f32 v2, v4, v2 :: v_dual_lshlrev_b32 v5, 3, v5
	v_add_lshl_u32 v5, v5, v1, 2
	ds_bpermute_b32 v4, v5, v2
	v_cndmask_b32_e64 v5, 0, 1, vcc_lo
	v_cmp_gt_u32_e32 vcc_lo, 30, v1
	s_waitcnt lgkmcnt(0)
	s_delay_alu instid0(VALU_DEP_2) | instskip(NEXT) | instid1(VALU_DEP_1)
	v_dual_add_f32 v2, v2, v4 :: v_dual_lshlrev_b32 v5, 2, v5
	v_add_lshl_u32 v5, v5, v1, 2
	ds_bpermute_b32 v4, v5, v2
	v_cndmask_b32_e64 v5, 0, 1, vcc_lo
	v_cmp_ne_u32_e32 vcc_lo, 31, v1
	s_waitcnt lgkmcnt(0)
	s_delay_alu instid0(VALU_DEP_2) | instskip(NEXT) | instid1(VALU_DEP_1)
	v_dual_add_f32 v2, v2, v4 :: v_dual_lshlrev_b32 v5, 1, v5
	v_add_lshl_u32 v5, v5, v1, 2
	ds_bpermute_b32 v4, v5, v2
	v_add_co_ci_u32_e32 v5, vcc_lo, 0, v1, vcc_lo
	v_cmp_eq_u32_e32 vcc_lo, 0, v0
	s_waitcnt lgkmcnt(0)
	s_delay_alu instid0(VALU_DEP_2)
	v_dual_add_f32 v1, v2, v4 :: v_dual_lshlrev_b32 v2, 2, v5
	ds_bpermute_b32 v2, v2, v1
	s_and_b32 exec_lo, exec_lo, vcc_lo
	s_cbranch_execz .LBB3_16
; %bb.15:
	s_waitcnt lgkmcnt(0)
	v_dual_add_f32 v0, v1, v2 :: v_dual_mov_b32 v1, 0
	ds_store_b32 v1, v0
.LBB3_16:
	s_or_b32 exec_lo, exec_lo, s1
	v_mov_b32_e32 v1, 0
	s_waitcnt lgkmcnt(0)
	s_barrier
	buffer_gl0_inv
	s_ashr_i32 s3, s2, 31
	ds_load_b32 v0, v1
	s_waitcnt lgkmcnt(0)
	v_mul_f32_e32 v2, 0x4f800000, v0
	v_cmp_gt_f32_e32 vcc_lo, 0xf800000, v0
	s_delay_alu instid0(VALU_DEP_2) | instskip(NEXT) | instid1(VALU_DEP_1)
	v_cndmask_b32_e32 v0, v0, v2, vcc_lo
	v_sqrt_f32_e32 v2, v0
	s_waitcnt_depctr 0xfff
	v_add_nc_u32_e32 v4, -1, v2
	v_add_nc_u32_e32 v5, 1, v2
	s_delay_alu instid0(VALU_DEP_2) | instskip(NEXT) | instid1(VALU_DEP_2)
	v_fma_f32 v6, -v4, v2, v0
	v_fma_f32 v7, -v5, v2, v0
	s_delay_alu instid0(VALU_DEP_2) | instskip(NEXT) | instid1(VALU_DEP_1)
	v_cmp_ge_f32_e64 s1, 0, v6
	v_cndmask_b32_e64 v2, v2, v4, s1
	s_delay_alu instid0(VALU_DEP_3) | instskip(NEXT) | instid1(VALU_DEP_1)
	v_cmp_lt_f32_e64 s1, 0, v7
	v_cndmask_b32_e64 v2, v2, v5, s1
	s_mov_b32 s1, exec_lo
	s_delay_alu instid0(VALU_DEP_1) | instskip(NEXT) | instid1(VALU_DEP_1)
	v_mul_f32_e32 v4, 0x37800000, v2
	v_cndmask_b32_e32 v2, v2, v4, vcc_lo
	v_cmp_class_f32_e64 vcc_lo, v0, 0x260
	s_delay_alu instid0(VALU_DEP_2)
	v_cndmask_b32_e32 v0, v2, v0, vcc_lo
	v_cmpx_eq_u32_e32 0, v3
	s_cbranch_execz .LBB3_18
; %bb.17:
	s_lshl_b64 s[12:13], s[2:3], 2
	s_delay_alu instid0(SALU_CYCLE_1)
	s_add_u32 s6, s6, s12
	s_addc_u32 s7, s7, s13
	global_store_b32 v1, v0, s[6:7]
.LBB3_18:
	s_or_b32 exec_lo, exec_lo, s1
	s_and_saveexec_b32 s1, s0
	s_cbranch_execz .LBB3_26
; %bb.19:
	v_cvt_f32_u32_e32 v2, s15
	s_lshl_b64 s[0:1], s[2:3], 1
	v_div_scale_f32 v7, null, v0, v0, 1.0
	s_add_u32 s0, s10, s0
	s_delay_alu instid0(VALU_DEP_2)
	v_rcp_iflag_f32_e32 v2, v2
	v_mov_b32_e32 v1, 0
	s_addc_u32 s1, s11, s1
	s_mov_b32 s2, 0
	s_waitcnt_depctr 0xfff
	v_mul_f32_e32 v2, 0x4f7ffffe, v2
	global_load_u16 v1, v1, s[0:1]
	s_sub_i32 s0, 0, s15
	s_cmp_eq_u32 s15, 1
	v_cvt_u32_f32_e32 v2, v2
	s_delay_alu instid0(VALU_DEP_1) | instskip(NEXT) | instid1(VALU_DEP_1)
	v_mul_lo_u32 v4, s0, v2
	v_mul_hi_u32 v4, v2, v4
	s_delay_alu instid0(VALU_DEP_1) | instskip(SKIP_3) | instid1(VALU_DEP_1)
	v_add_nc_u32_e32 v2, v2, v4
	v_rcp_f32_e32 v4, v7
	s_waitcnt_depctr 0xfff
	v_fma_f32 v8, -v7, v4, 1.0
	v_dual_fmac_f32 v4, v8, v4 :: v_dual_add_nc_u32 v5, s15, v3
	s_delay_alu instid0(VALU_DEP_1) | instskip(SKIP_3) | instid1(VALU_DEP_2)
	v_cmp_gt_i32_e32 vcc_lo, s14, v5
	v_max_i32_e32 v6, s14, v5
	v_add_co_ci_u32_e64 v5, s0, s15, v3, vcc_lo
	v_div_scale_f32 v9, s0, 1.0, v0, 1.0
	v_sub_nc_u32_e32 v5, v6, v5
	s_delay_alu instid0(VALU_DEP_2) | instskip(NEXT) | instid1(VALU_DEP_2)
	v_mul_f32_e32 v8, v9, v4
	v_mul_hi_u32 v2, v5, v2
	s_delay_alu instid0(VALU_DEP_1) | instskip(NEXT) | instid1(VALU_DEP_1)
	v_mul_lo_u32 v6, v2, s15
	v_sub_nc_u32_e32 v5, v5, v6
	v_add_nc_u32_e32 v6, 1, v2
	s_delay_alu instid0(VALU_DEP_2) | instskip(SKIP_1) | instid1(VALU_DEP_1)
	v_subrev_nc_u32_e32 v10, s15, v5
	v_cmp_le_u32_e64 s1, s15, v5
	v_cndmask_b32_e64 v2, v2, v6, s1
	s_delay_alu instid0(VALU_DEP_3) | instskip(SKIP_1) | instid1(VALU_DEP_3)
	v_cndmask_b32_e64 v5, v5, v10, s1
	v_fma_f32 v6, -v7, v8, v9
	v_add_nc_u32_e32 v10, 1, v2
	s_delay_alu instid0(VALU_DEP_3) | instskip(NEXT) | instid1(VALU_DEP_3)
	v_cmp_le_u32_e64 s1, s15, v5
	v_fmac_f32_e32 v8, v6, v4
	s_delay_alu instid0(VALU_DEP_2) | instskip(NEXT) | instid1(VALU_DEP_2)
	v_cndmask_b32_e64 v2, v2, v10, s1
	v_fma_f32 v6, -v7, v8, v9
	s_delay_alu instid0(VALU_DEP_2) | instskip(SKIP_2) | instid1(VALU_DEP_2)
	v_add_co_ci_u32_e32 v5, vcc_lo, 1, v2, vcc_lo
	s_mov_b32 vcc_lo, s0
	s_cselect_b32 s0, -1, 0
	v_div_fmas_f32 v2, v6, v4, v8
	s_delay_alu instid0(VALU_DEP_2) | instskip(NEXT) | instid1(VALU_DEP_2)
	v_cmp_lt_u32_e32 vcc_lo, 1, v5
	v_div_fixup_f32 v2, v2, v0, 1.0
	s_and_b32 s3, vcc_lo, s0
	s_mov_b32 s0, -1
	s_waitcnt vmcnt(0)
	v_cvt_f32_f16_e32 v4, v1
	s_and_saveexec_b32 s1, s3
	s_cbranch_execz .LBB3_23
; %bb.20:
	v_and_b32_e32 v6, -2, v5
	s_delay_alu instid0(VALU_DEP_1)
	v_dual_mov_b32 v7, v6 :: v_dual_add_nc_u32 v0, s16, v3
	.p2align	6
.LBB3_21:                               ; =>This Inner Loop Header: Depth=1
	s_delay_alu instid0(VALU_DEP_1) | instskip(NEXT) | instid1(VALU_DEP_1)
	v_ashrrev_i32_e32 v1, 31, v0
	v_lshlrev_b64 v[8:9], 1, v[0:1]
	v_add_nc_u32_e32 v0, 2, v0
	s_delay_alu instid0(VALU_DEP_2) | instskip(NEXT) | instid1(VALU_DEP_3)
	v_add_co_u32 v10, vcc_lo, s8, v8
	v_add_co_ci_u32_e32 v11, vcc_lo, s9, v9, vcc_lo
	v_add_co_u32 v8, s0, s4, v8
	s_delay_alu instid0(VALU_DEP_1) | instskip(SKIP_4) | instid1(VALU_DEP_2)
	v_add_co_ci_u32_e64 v9, s0, s5, v9, s0
	global_load_b32 v1, v[10:11], off
	s_waitcnt vmcnt(0)
	v_lshrrev_b32_e32 v10, 16, v1
	v_cvt_f32_f16_e32 v1, v1
	v_cvt_f32_f16_e32 v10, v10
	s_delay_alu instid0(VALU_DEP_2) | instskip(NEXT) | instid1(VALU_DEP_2)
	v_mul_f32_e32 v1, v4, v1
	v_dual_mul_f32 v10, v4, v10 :: v_dual_add_nc_u32 v7, -2, v7
	s_delay_alu instid0(VALU_DEP_2) | instskip(NEXT) | instid1(VALU_DEP_2)
	v_fma_mixlo_f16 v1, v2, v1, 0
	v_cmp_eq_u32_e32 vcc_lo, 0, v7
	s_delay_alu instid0(VALU_DEP_2)
	v_fma_mixhi_f16 v1, v2, v10, 0
	s_or_b32 s2, vcc_lo, s2
	global_store_b32 v[8:9], v1, off
	s_and_not1_b32 exec_lo, exec_lo, s2
	s_cbranch_execnz .LBB3_21
; %bb.22:
	s_or_b32 exec_lo, exec_lo, s2
	v_cmp_ne_u32_e32 vcc_lo, v5, v6
	v_add_nc_u32_e32 v3, v3, v6
	s_or_not1_b32 s0, vcc_lo, exec_lo
.LBB3_23:
	s_or_b32 exec_lo, exec_lo, s1
	s_delay_alu instid0(SALU_CYCLE_1)
	s_and_b32 exec_lo, exec_lo, s0
	s_cbranch_execz .LBB3_26
; %bb.24:
	v_ashrrev_i32_e32 v1, 31, v3
	s_ashr_i32 s0, s16, 31
	v_add_co_u32 v0, vcc_lo, v3, s16
	s_lshl_b32 s1, s15, 1
	s_delay_alu instid0(VALU_DEP_2) | instskip(SKIP_1) | instid1(VALU_DEP_1)
	v_add_co_ci_u32_e32 v1, vcc_lo, s0, v1, vcc_lo
	s_mov_b32 s2, 0
	v_lshlrev_b64 v[0:1], 1, v[0:1]
	.p2align	6
.LBB3_25:                               ; =>This Inner Loop Header: Depth=1
	s_delay_alu instid0(VALU_DEP_1) | instskip(NEXT) | instid1(VALU_DEP_2)
	v_add_co_u32 v5, vcc_lo, s8, v0
	v_add_co_ci_u32_e32 v6, vcc_lo, s9, v1, vcc_lo
	v_add_nc_u32_e32 v3, s15, v3
	global_load_u16 v6, v[5:6], off
	v_add_co_u32 v5, vcc_lo, s4, v0
	v_cmp_le_i32_e64 s0, s14, v3
	s_delay_alu instid0(VALU_DEP_1) | instskip(SKIP_4) | instid1(VALU_DEP_3)
	s_or_b32 s2, s0, s2
	s_waitcnt vmcnt(0)
	v_cvt_f32_f16_e32 v7, v6
	v_add_co_ci_u32_e32 v6, vcc_lo, s5, v1, vcc_lo
	v_add_co_u32 v0, vcc_lo, v0, s1
	v_mul_f32_e32 v7, v4, v7
	v_add_co_ci_u32_e32 v1, vcc_lo, 0, v1, vcc_lo
	s_delay_alu instid0(VALU_DEP_2)
	v_fma_mixlo_f16 v7, v2, v7, 0
	global_store_b16 v[5:6], v7, off
	s_and_not1_b32 exec_lo, exec_lo, s2
	s_cbranch_execnz .LBB3_25
.LBB3_26:
	s_nop 0
	s_sendmsg sendmsg(MSG_DEALLOC_VGPRS)
	s_endpgm
	.section	.rodata,"a",@progbits
	.p2align	6, 0x0
	.amdhsa_kernel _ZN2at6native12_GLOBAL__N_132weight_norm_fwd_first_dim_kernelIN3c104HalfEfEEvPT_PT0_PKS5_SA_i
		.amdhsa_group_segment_fixed_size 0
		.amdhsa_private_segment_fixed_size 0
		.amdhsa_kernarg_size 296
		.amdhsa_user_sgpr_count 15
		.amdhsa_user_sgpr_dispatch_ptr 0
		.amdhsa_user_sgpr_queue_ptr 0
		.amdhsa_user_sgpr_kernarg_segment_ptr 1
		.amdhsa_user_sgpr_dispatch_id 0
		.amdhsa_user_sgpr_private_segment_size 0
		.amdhsa_wavefront_size32 1
		.amdhsa_uses_dynamic_stack 0
		.amdhsa_enable_private_segment 0
		.amdhsa_system_sgpr_workgroup_id_x 1
		.amdhsa_system_sgpr_workgroup_id_y 0
		.amdhsa_system_sgpr_workgroup_id_z 0
		.amdhsa_system_sgpr_workgroup_info 0
		.amdhsa_system_vgpr_workitem_id 1
		.amdhsa_next_free_vgpr 12
		.amdhsa_next_free_sgpr 19
		.amdhsa_reserve_vcc 1
		.amdhsa_float_round_mode_32 0
		.amdhsa_float_round_mode_16_64 0
		.amdhsa_float_denorm_mode_32 3
		.amdhsa_float_denorm_mode_16_64 3
		.amdhsa_dx10_clamp 1
		.amdhsa_ieee_mode 1
		.amdhsa_fp16_overflow 0
		.amdhsa_workgroup_processor_mode 1
		.amdhsa_memory_ordered 1
		.amdhsa_forward_progress 0
		.amdhsa_shared_vgpr_count 0
		.amdhsa_exception_fp_ieee_invalid_op 0
		.amdhsa_exception_fp_denorm_src 0
		.amdhsa_exception_fp_ieee_div_zero 0
		.amdhsa_exception_fp_ieee_overflow 0
		.amdhsa_exception_fp_ieee_underflow 0
		.amdhsa_exception_fp_ieee_inexact 0
		.amdhsa_exception_int_div_zero 0
	.end_amdhsa_kernel
	.section	.text._ZN2at6native12_GLOBAL__N_132weight_norm_fwd_first_dim_kernelIN3c104HalfEfEEvPT_PT0_PKS5_SA_i,"axG",@progbits,_ZN2at6native12_GLOBAL__N_132weight_norm_fwd_first_dim_kernelIN3c104HalfEfEEvPT_PT0_PKS5_SA_i,comdat
.Lfunc_end3:
	.size	_ZN2at6native12_GLOBAL__N_132weight_norm_fwd_first_dim_kernelIN3c104HalfEfEEvPT_PT0_PKS5_SA_i, .Lfunc_end3-_ZN2at6native12_GLOBAL__N_132weight_norm_fwd_first_dim_kernelIN3c104HalfEfEEvPT_PT0_PKS5_SA_i
                                        ; -- End function
	.section	.AMDGPU.csdata,"",@progbits
; Kernel info:
; codeLenInByte = 1624
; NumSgprs: 21
; NumVgprs: 12
; ScratchSize: 0
; MemoryBound: 0
; FloatMode: 240
; IeeeMode: 1
; LDSByteSize: 0 bytes/workgroup (compile time only)
; SGPRBlocks: 2
; VGPRBlocks: 1
; NumSGPRsForWavesPerEU: 21
; NumVGPRsForWavesPerEU: 12
; Occupancy: 16
; WaveLimiterHint : 0
; COMPUTE_PGM_RSRC2:SCRATCH_EN: 0
; COMPUTE_PGM_RSRC2:USER_SGPR: 15
; COMPUTE_PGM_RSRC2:TRAP_HANDLER: 0
; COMPUTE_PGM_RSRC2:TGID_X_EN: 1
; COMPUTE_PGM_RSRC2:TGID_Y_EN: 0
; COMPUTE_PGM_RSRC2:TGID_Z_EN: 0
; COMPUTE_PGM_RSRC2:TIDIG_COMP_CNT: 1
	.section	.text._ZN2at6native12_GLOBAL__N_131weight_norm_fwd_last_dim_kernelIddEEvPT_PT0_PKS3_S8_ii,"axG",@progbits,_ZN2at6native12_GLOBAL__N_131weight_norm_fwd_last_dim_kernelIddEEvPT_PT0_PKS3_S8_ii,comdat
	.globl	_ZN2at6native12_GLOBAL__N_131weight_norm_fwd_last_dim_kernelIddEEvPT_PT0_PKS3_S8_ii ; -- Begin function _ZN2at6native12_GLOBAL__N_131weight_norm_fwd_last_dim_kernelIddEEvPT_PT0_PKS3_S8_ii
	.p2align	8
	.type	_ZN2at6native12_GLOBAL__N_131weight_norm_fwd_last_dim_kernelIddEEvPT_PT0_PKS3_S8_ii,@function
_ZN2at6native12_GLOBAL__N_131weight_norm_fwd_last_dim_kernelIddEEvPT_PT0_PKS3_S8_ii: ; @_ZN2at6native12_GLOBAL__N_131weight_norm_fwd_last_dim_kernelIddEEvPT_PT0_PKS3_S8_ii
; %bb.0:
	s_clause 0x1
	s_load_b32 s12, s[0:1], 0x34
	s_load_b64 s[2:3], s[0:1], 0x20
	v_and_b32_e32 v2, 0x3ff, v0
	s_load_b256 s[4:11], s[0:1], 0x0
	v_bfe_u32 v8, v0, 10, 10
	s_waitcnt lgkmcnt(0)
	s_and_b32 s13, s12, 0xffff
	s_delay_alu instid0(VALU_DEP_1) | instskip(SKIP_2) | instid1(VALU_DEP_1)
	v_cmp_gt_i32_e64 s0, s3, v8
	v_mad_u64_u32 v[3:4], null, s15, s13, v[2:3]
	s_lshr_b32 s1, s12, 16
	v_mad_u64_u32 v[0:1], null, v8, s2, v[3:4]
	v_cmp_gt_i32_e32 vcc_lo, s2, v3
	v_mov_b32_e32 v4, 0
	v_mov_b32_e32 v5, 0
	s_mul_i32 s2, s1, s2
	s_and_b32 s12, vcc_lo, s0
	s_delay_alu instid0(SALU_CYCLE_1)
	s_and_saveexec_b32 s0, s12
	s_cbranch_execz .LBB4_4
; %bb.1:
	v_dual_mov_b32 v4, 0 :: v_dual_mov_b32 v1, v8
	v_dual_mov_b32 v5, 0 :: v_dual_mov_b32 v6, v0
	s_mov_b32 s14, 0
.LBB4_2:                                ; =>This Inner Loop Header: Depth=1
	s_delay_alu instid0(VALU_DEP_1) | instskip(NEXT) | instid1(VALU_DEP_3)
	v_ashrrev_i32_e32 v7, 31, v6
	v_add_nc_u32_e32 v1, s1, v1
	s_delay_alu instid0(VALU_DEP_2) | instskip(SKIP_1) | instid1(VALU_DEP_2)
	v_lshlrev_b64 v[9:10], 3, v[6:7]
	v_add_nc_u32_e32 v6, s2, v6
	v_add_co_u32 v9, vcc_lo, s8, v9
	s_delay_alu instid0(VALU_DEP_3)
	v_add_co_ci_u32_e32 v10, vcc_lo, s9, v10, vcc_lo
	v_cmp_le_i32_e32 vcc_lo, s3, v1
	global_load_b64 v[9:10], v[9:10], off
	s_or_b32 s14, vcc_lo, s14
	s_waitcnt vmcnt(0)
	v_fma_f64 v[4:5], v[9:10], v[9:10], v[4:5]
	s_and_not1_b32 exec_lo, exec_lo, s14
	s_cbranch_execnz .LBB4_2
; %bb.3:
	s_or_b32 exec_lo, exec_lo, s14
.LBB4_4:
	s_delay_alu instid0(SALU_CYCLE_1) | instskip(SKIP_2) | instid1(SALU_CYCLE_1)
	s_or_b32 exec_lo, exec_lo, s0
	v_mad_u32_u24 v6, v8, s13, v2
	s_mul_i32 s0, s1, s13
	s_cmp_gt_i32 s0, 63
	s_cselect_b32 s15, -1, 0
	s_delay_alu instid0(VALU_DEP_1)
	v_lshl_add_u32 v1, v6, 3, 0
	s_cmp_lt_i32 s0, 64
	s_cbranch_scc1 .LBB4_6
; %bb.5:
	ds_store_b64 v1, v[4:5]
	s_waitcnt lgkmcnt(0)
	s_barrier
	buffer_gl0_inv
.LBB4_6:
	s_ashr_i32 s14, s0, 1
	s_delay_alu instid0(SALU_CYCLE_1)
	s_cmp_lt_i32 s14, 64
	s_cbranch_scc0 .LBB4_22
.LBB4_7:
	s_mov_b32 s14, exec_lo
	v_cmpx_gt_u32_e32 32, v6
	s_cbranch_execz .LBB4_15
; %bb.8:
	s_and_not1_b32 vcc_lo, exec_lo, s15
	s_cbranch_vccnz .LBB4_10
; %bb.9:
	ds_load_2addr_b64 v[9:12], v1 offset1:32
	s_waitcnt lgkmcnt(0)
	v_add_f64 v[4:5], v[9:10], v[11:12]
.LBB4_10:
	s_cmp_gt_u32 s13, 16
	s_mov_b32 s15, 16
	s_cbranch_scc1 .LBB4_13
; %bb.11:
	v_mbcnt_lo_u32_b32 v7, -1, 0
.LBB4_12:                               ; =>This Inner Loop Header: Depth=1
	s_delay_alu instid0(VALU_DEP_1) | instskip(NEXT) | instid1(VALU_DEP_1)
	v_add_nc_u32_e32 v9, s15, v7
	v_cmp_gt_u32_e32 vcc_lo, 32, v9
	v_cndmask_b32_e64 v9, 0, s15, vcc_lo
	s_lshr_b32 s15, s15, 1
	s_delay_alu instid0(SALU_CYCLE_1) | instskip(NEXT) | instid1(VALU_DEP_1)
	s_cmp_lt_u32 s15, s13
	v_add_lshl_u32 v10, v9, v7, 2
	ds_bpermute_b32 v9, v10, v4
	ds_bpermute_b32 v10, v10, v5
	s_waitcnt lgkmcnt(0)
	v_add_f64 v[4:5], v[4:5], v[9:10]
	s_cbranch_scc0 .LBB4_12
.LBB4_13:
	v_cmp_gt_u32_e32 vcc_lo, s13, v6
	s_and_b32 exec_lo, exec_lo, vcc_lo
	s_cbranch_execz .LBB4_15
; %bb.14:
	ds_store_b64 v1, v[4:5]
.LBB4_15:
	s_or_b32 exec_lo, exec_lo, s14
	v_ashrrev_i32_e32 v4, 31, v3
	s_mov_b32 s13, exec_lo
	s_lshl_b32 s0, s0, 3
	s_waitcnt lgkmcnt(0)
	s_barrier
	buffer_gl0_inv
	v_cmpx_ne_u32_e32 0, v8
	s_xor_b32 s13, exec_lo, s13
	s_delay_alu instid0(SALU_CYCLE_1)
	s_or_saveexec_b32 s14, s13
	s_add_i32 s13, s0, 0
	s_xor_b32 exec_lo, exec_lo, s14
	s_cbranch_execz .LBB4_17
; %bb.16:
	v_lshlrev_b32_e32 v1, 3, v2
	s_delay_alu instid0(VALU_DEP_1) | instskip(SKIP_3) | instid1(VALU_DEP_1)
	v_add_nc_u32_e32 v5, 0, v1
	ds_load_b64 v[5:6], v5
	s_waitcnt lgkmcnt(0)
	v_cvt_f32_f64_e32 v5, v[5:6]
	v_mul_f32_e32 v6, 0x4f800000, v5
	v_cmp_gt_f32_e32 vcc_lo, 0xf800000, v5
	v_add_nc_u32_e32 v1, s13, v1
	s_delay_alu instid0(VALU_DEP_3) | instskip(NEXT) | instid1(VALU_DEP_1)
	v_cndmask_b32_e32 v5, v5, v6, vcc_lo
	v_sqrt_f32_e32 v6, v5
	s_waitcnt_depctr 0xfff
	v_add_nc_u32_e32 v7, -1, v6
	v_add_nc_u32_e32 v9, 1, v6
	s_delay_alu instid0(VALU_DEP_2) | instskip(NEXT) | instid1(VALU_DEP_2)
	v_fma_f32 v10, -v7, v6, v5
	v_fma_f32 v11, -v9, v6, v5
	s_delay_alu instid0(VALU_DEP_2) | instskip(NEXT) | instid1(VALU_DEP_1)
	v_cmp_ge_f32_e64 s0, 0, v10
	v_cndmask_b32_e64 v6, v6, v7, s0
	s_delay_alu instid0(VALU_DEP_3) | instskip(NEXT) | instid1(VALU_DEP_1)
	v_cmp_lt_f32_e64 s0, 0, v11
	v_cndmask_b32_e64 v6, v6, v9, s0
	s_delay_alu instid0(VALU_DEP_1) | instskip(NEXT) | instid1(VALU_DEP_1)
	v_mul_f32_e32 v7, 0x37800000, v6
	v_cndmask_b32_e32 v6, v6, v7, vcc_lo
	v_cmp_class_f32_e64 vcc_lo, v5, 0x260
	s_delay_alu instid0(VALU_DEP_2) | instskip(NEXT) | instid1(VALU_DEP_1)
	v_cndmask_b32_e32 v5, v6, v5, vcc_lo
	v_cvt_f64_f32_e32 v[5:6], v5
	s_delay_alu instid0(VALU_DEP_1) | instskip(NEXT) | instid1(VALU_DEP_1)
	v_div_scale_f64 v[9:10], null, v[5:6], v[5:6], 1.0
	v_rcp_f64_e32 v[11:12], v[9:10]
	s_waitcnt_depctr 0xfff
	v_fma_f64 v[13:14], -v[9:10], v[11:12], 1.0
	s_delay_alu instid0(VALU_DEP_1) | instskip(NEXT) | instid1(VALU_DEP_1)
	v_fma_f64 v[11:12], v[11:12], v[13:14], v[11:12]
	v_fma_f64 v[13:14], -v[9:10], v[11:12], 1.0
	s_delay_alu instid0(VALU_DEP_1) | instskip(SKIP_1) | instid1(VALU_DEP_1)
	v_fma_f64 v[11:12], v[11:12], v[13:14], v[11:12]
	v_div_scale_f64 v[13:14], vcc_lo, 1.0, v[5:6], 1.0
	v_mul_f64 v[15:16], v[13:14], v[11:12]
	s_delay_alu instid0(VALU_DEP_1) | instskip(NEXT) | instid1(VALU_DEP_1)
	v_fma_f64 v[9:10], -v[9:10], v[15:16], v[13:14]
	v_div_fmas_f64 v[9:10], v[9:10], v[11:12], v[15:16]
	v_lshlrev_b64 v[11:12], 3, v[3:4]
	s_delay_alu instid0(VALU_DEP_1) | instskip(NEXT) | instid1(VALU_DEP_2)
	v_add_co_u32 v11, vcc_lo, s6, v11
	v_add_co_ci_u32_e32 v12, vcc_lo, s7, v12, vcc_lo
	global_store_b64 v[11:12], v[5:6], off
	v_div_fixup_f64 v[9:10], v[9:10], v[5:6], 1.0
	ds_store_b64 v1, v[9:10]
.LBB4_17:
	s_or_b32 exec_lo, exec_lo, s14
	s_waitcnt lgkmcnt(0)
	s_waitcnt_vscnt null, 0x0
	s_barrier
	buffer_gl0_inv
	s_and_saveexec_b32 s0, s12
	s_cbranch_execz .LBB4_20
; %bb.18:
	v_lshlrev_b64 v[3:4], 3, v[3:4]
	v_lshl_add_u32 v1, v2, 3, s13
	s_mov_b32 s6, 0
	ds_load_b64 v[5:6], v1
	v_add_co_u32 v3, vcc_lo, s10, v3
	v_add_co_ci_u32_e32 v4, vcc_lo, s11, v4, vcc_lo
	global_load_b64 v[3:4], v[3:4], off
	.p2align	6
.LBB4_19:                               ; =>This Inner Loop Header: Depth=1
	v_ashrrev_i32_e32 v1, 31, v0
	v_add_nc_u32_e32 v8, s1, v8
	s_delay_alu instid0(VALU_DEP_2) | instskip(SKIP_1) | instid1(VALU_DEP_2)
	v_lshlrev_b64 v[1:2], 3, v[0:1]
	v_add_nc_u32_e32 v0, s2, v0
	v_add_co_u32 v9, vcc_lo, s8, v1
	s_delay_alu instid0(VALU_DEP_3)
	v_add_co_ci_u32_e32 v10, vcc_lo, s9, v2, vcc_lo
	v_cmp_le_i32_e32 vcc_lo, s3, v8
	v_add_co_u32 v1, s0, s4, v1
	global_load_b64 v[9:10], v[9:10], off
	v_add_co_ci_u32_e64 v2, s0, s5, v2, s0
	s_or_b32 s6, vcc_lo, s6
	s_waitcnt vmcnt(0)
	v_mul_f64 v[9:10], v[3:4], v[9:10]
	s_waitcnt lgkmcnt(0)
	s_delay_alu instid0(VALU_DEP_1)
	v_mul_f64 v[9:10], v[5:6], v[9:10]
	global_store_b64 v[1:2], v[9:10], off
	s_and_not1_b32 exec_lo, exec_lo, s6
	s_cbranch_execnz .LBB4_19
.LBB4_20:
	s_nop 0
	s_sendmsg sendmsg(MSG_DEALLOC_VGPRS)
	s_endpgm
	.p2align	6
.LBB4_21:                               ;   in Loop: Header=BB4_22 Depth=1
	s_or_b32 exec_lo, exec_lo, s16
	s_lshr_b32 s16, s14, 1
	s_cmpk_lt_u32 s14, 0x80
	s_mov_b32 s14, s16
	s_waitcnt lgkmcnt(0)
	s_barrier
	buffer_gl0_inv
	s_cbranch_scc1 .LBB4_7
.LBB4_22:                               ; =>This Inner Loop Header: Depth=1
	s_mov_b32 s16, exec_lo
	v_cmpx_gt_i32_e64 s14, v6
	s_cbranch_execz .LBB4_21
; %bb.23:                               ;   in Loop: Header=BB4_22 Depth=1
	v_lshl_add_u32 v7, s14, 3, v1
	ds_load_b64 v[9:10], v1
	ds_load_b64 v[11:12], v7
	s_waitcnt lgkmcnt(0)
	v_add_f64 v[9:10], v[9:10], v[11:12]
	ds_store_b64 v1, v[9:10]
	s_branch .LBB4_21
	.section	.rodata,"a",@progbits
	.p2align	6, 0x0
	.amdhsa_kernel _ZN2at6native12_GLOBAL__N_131weight_norm_fwd_last_dim_kernelIddEEvPT_PT0_PKS3_S8_ii
		.amdhsa_group_segment_fixed_size 0
		.amdhsa_private_segment_fixed_size 0
		.amdhsa_kernarg_size 296
		.amdhsa_user_sgpr_count 15
		.amdhsa_user_sgpr_dispatch_ptr 0
		.amdhsa_user_sgpr_queue_ptr 0
		.amdhsa_user_sgpr_kernarg_segment_ptr 1
		.amdhsa_user_sgpr_dispatch_id 0
		.amdhsa_user_sgpr_private_segment_size 0
		.amdhsa_wavefront_size32 1
		.amdhsa_uses_dynamic_stack 0
		.amdhsa_enable_private_segment 0
		.amdhsa_system_sgpr_workgroup_id_x 1
		.amdhsa_system_sgpr_workgroup_id_y 0
		.amdhsa_system_sgpr_workgroup_id_z 0
		.amdhsa_system_sgpr_workgroup_info 0
		.amdhsa_system_vgpr_workitem_id 1
		.amdhsa_next_free_vgpr 17
		.amdhsa_next_free_sgpr 17
		.amdhsa_reserve_vcc 1
		.amdhsa_float_round_mode_32 0
		.amdhsa_float_round_mode_16_64 0
		.amdhsa_float_denorm_mode_32 3
		.amdhsa_float_denorm_mode_16_64 3
		.amdhsa_dx10_clamp 1
		.amdhsa_ieee_mode 1
		.amdhsa_fp16_overflow 0
		.amdhsa_workgroup_processor_mode 1
		.amdhsa_memory_ordered 1
		.amdhsa_forward_progress 0
		.amdhsa_shared_vgpr_count 0
		.amdhsa_exception_fp_ieee_invalid_op 0
		.amdhsa_exception_fp_denorm_src 0
		.amdhsa_exception_fp_ieee_div_zero 0
		.amdhsa_exception_fp_ieee_overflow 0
		.amdhsa_exception_fp_ieee_underflow 0
		.amdhsa_exception_fp_ieee_inexact 0
		.amdhsa_exception_int_div_zero 0
	.end_amdhsa_kernel
	.section	.text._ZN2at6native12_GLOBAL__N_131weight_norm_fwd_last_dim_kernelIddEEvPT_PT0_PKS3_S8_ii,"axG",@progbits,_ZN2at6native12_GLOBAL__N_131weight_norm_fwd_last_dim_kernelIddEEvPT_PT0_PKS3_S8_ii,comdat
.Lfunc_end4:
	.size	_ZN2at6native12_GLOBAL__N_131weight_norm_fwd_last_dim_kernelIddEEvPT_PT0_PKS3_S8_ii, .Lfunc_end4-_ZN2at6native12_GLOBAL__N_131weight_norm_fwd_last_dim_kernelIddEEvPT_PT0_PKS3_S8_ii
                                        ; -- End function
	.section	.AMDGPU.csdata,"",@progbits
; Kernel info:
; codeLenInByte = 1148
; NumSgprs: 19
; NumVgprs: 17
; ScratchSize: 0
; MemoryBound: 0
; FloatMode: 240
; IeeeMode: 1
; LDSByteSize: 0 bytes/workgroup (compile time only)
; SGPRBlocks: 2
; VGPRBlocks: 2
; NumSGPRsForWavesPerEU: 19
; NumVGPRsForWavesPerEU: 17
; Occupancy: 16
; WaveLimiterHint : 0
; COMPUTE_PGM_RSRC2:SCRATCH_EN: 0
; COMPUTE_PGM_RSRC2:USER_SGPR: 15
; COMPUTE_PGM_RSRC2:TRAP_HANDLER: 0
; COMPUTE_PGM_RSRC2:TGID_X_EN: 1
; COMPUTE_PGM_RSRC2:TGID_Y_EN: 0
; COMPUTE_PGM_RSRC2:TGID_Z_EN: 0
; COMPUTE_PGM_RSRC2:TIDIG_COMP_CNT: 1
	.section	.text._ZN2at6native12_GLOBAL__N_131weight_norm_fwd_last_dim_kernelIffEEvPT_PT0_PKS3_S8_ii,"axG",@progbits,_ZN2at6native12_GLOBAL__N_131weight_norm_fwd_last_dim_kernelIffEEvPT_PT0_PKS3_S8_ii,comdat
	.globl	_ZN2at6native12_GLOBAL__N_131weight_norm_fwd_last_dim_kernelIffEEvPT_PT0_PKS3_S8_ii ; -- Begin function _ZN2at6native12_GLOBAL__N_131weight_norm_fwd_last_dim_kernelIffEEvPT_PT0_PKS3_S8_ii
	.p2align	8
	.type	_ZN2at6native12_GLOBAL__N_131weight_norm_fwd_last_dim_kernelIffEEvPT_PT0_PKS3_S8_ii,@function
_ZN2at6native12_GLOBAL__N_131weight_norm_fwd_last_dim_kernelIffEEvPT_PT0_PKS3_S8_ii: ; @_ZN2at6native12_GLOBAL__N_131weight_norm_fwd_last_dim_kernelIffEEvPT_PT0_PKS3_S8_ii
; %bb.0:
	s_clause 0x1
	s_load_b32 s12, s[0:1], 0x34
	s_load_b64 s[2:3], s[0:1], 0x20
	v_and_b32_e32 v2, 0x3ff, v0
	s_load_b256 s[4:11], s[0:1], 0x0
	v_bfe_u32 v6, v0, 10, 10
	s_waitcnt lgkmcnt(0)
	s_and_b32 s13, s12, 0xffff
	s_delay_alu instid0(VALU_DEP_1) | instskip(SKIP_2) | instid1(VALU_DEP_1)
	v_cmp_gt_i32_e64 s0, s3, v6
	v_mad_u64_u32 v[3:4], null, s15, s13, v[2:3]
	s_lshr_b32 s1, s12, 16
	v_mad_u64_u32 v[0:1], null, v6, s2, v[3:4]
	v_mov_b32_e32 v1, 0
	v_cmp_gt_i32_e32 vcc_lo, s2, v3
	s_mul_i32 s2, s1, s2
	s_and_b32 s12, vcc_lo, s0
	s_delay_alu instid0(SALU_CYCLE_1)
	s_and_saveexec_b32 s0, s12
	s_cbranch_execz .LBB5_4
; %bb.1:
	s_delay_alu instid0(VALU_DEP_3)
	v_dual_mov_b32 v1, 0 :: v_dual_mov_b32 v4, v0
	v_mov_b32_e32 v7, v6
	s_mov_b32 s14, 0
.LBB5_2:                                ; =>This Inner Loop Header: Depth=1
	s_delay_alu instid0(VALU_DEP_2) | instskip(NEXT) | instid1(VALU_DEP_2)
	v_ashrrev_i32_e32 v5, 31, v4
	v_add_nc_u32_e32 v7, s1, v7
	s_delay_alu instid0(VALU_DEP_2) | instskip(SKIP_1) | instid1(VALU_DEP_2)
	v_lshlrev_b64 v[8:9], 2, v[4:5]
	v_add_nc_u32_e32 v4, s2, v4
	v_add_co_u32 v8, vcc_lo, s8, v8
	s_delay_alu instid0(VALU_DEP_3)
	v_add_co_ci_u32_e32 v9, vcc_lo, s9, v9, vcc_lo
	v_cmp_le_i32_e32 vcc_lo, s3, v7
	global_load_b32 v5, v[8:9], off
	s_or_b32 s14, vcc_lo, s14
	s_waitcnt vmcnt(0)
	v_fmac_f32_e32 v1, v5, v5
	s_and_not1_b32 exec_lo, exec_lo, s14
	s_cbranch_execnz .LBB5_2
; %bb.3:
	s_or_b32 exec_lo, exec_lo, s14
.LBB5_4:
	s_delay_alu instid0(SALU_CYCLE_1) | instskip(SKIP_2) | instid1(SALU_CYCLE_1)
	s_or_b32 exec_lo, exec_lo, s0
	v_mad_u32_u24 v5, v6, s13, v2
	s_mul_i32 s0, s1, s13
	s_cmp_gt_i32 s0, 63
	s_cselect_b32 s15, -1, 0
	s_delay_alu instid0(VALU_DEP_1)
	v_lshl_add_u32 v4, v5, 2, 0
	s_cmp_lt_i32 s0, 64
	s_cbranch_scc1 .LBB5_6
; %bb.5:
	ds_store_b32 v4, v1
	s_waitcnt lgkmcnt(0)
	s_barrier
	buffer_gl0_inv
.LBB5_6:
	s_ashr_i32 s14, s0, 1
	s_delay_alu instid0(SALU_CYCLE_1)
	s_cmp_lt_i32 s14, 64
	s_cbranch_scc0 .LBB5_22
.LBB5_7:
	s_mov_b32 s14, exec_lo
	v_cmpx_gt_u32_e32 32, v5
	s_cbranch_execz .LBB5_15
; %bb.8:
	s_and_not1_b32 vcc_lo, exec_lo, s15
	s_cbranch_vccnz .LBB5_10
; %bb.9:
	ds_load_2addr_b32 v[7:8], v4 offset1:32
	s_waitcnt lgkmcnt(0)
	v_add_f32_e32 v1, v7, v8
.LBB5_10:
	s_cmp_gt_u32 s13, 16
	s_mov_b32 s15, 16
	s_cbranch_scc1 .LBB5_13
; %bb.11:
	v_mbcnt_lo_u32_b32 v7, -1, 0
.LBB5_12:                               ; =>This Inner Loop Header: Depth=1
	s_delay_alu instid0(VALU_DEP_1) | instskip(NEXT) | instid1(VALU_DEP_1)
	v_add_nc_u32_e32 v8, s15, v7
	v_cmp_gt_u32_e32 vcc_lo, 32, v8
	v_cndmask_b32_e64 v8, 0, s15, vcc_lo
	s_lshr_b32 s15, s15, 1
	s_delay_alu instid0(SALU_CYCLE_1) | instskip(NEXT) | instid1(VALU_DEP_1)
	s_cmp_lt_u32 s15, s13
	v_add_lshl_u32 v8, v8, v7, 2
	ds_bpermute_b32 v8, v8, v1
	s_waitcnt lgkmcnt(0)
	v_add_f32_e32 v1, v1, v8
	s_cbranch_scc0 .LBB5_12
.LBB5_13:
	v_cmp_gt_u32_e32 vcc_lo, s13, v5
	s_and_b32 exec_lo, exec_lo, vcc_lo
	s_cbranch_execz .LBB5_15
; %bb.14:
	ds_store_b32 v4, v1
.LBB5_15:
	s_or_b32 exec_lo, exec_lo, s14
	v_ashrrev_i32_e32 v4, 31, v3
	s_mov_b32 s13, exec_lo
	s_lshl_b32 s0, s0, 2
	s_waitcnt lgkmcnt(0)
	s_barrier
	buffer_gl0_inv
	v_cmpx_ne_u32_e32 0, v6
	s_xor_b32 s13, exec_lo, s13
	s_delay_alu instid0(SALU_CYCLE_1)
	s_or_saveexec_b32 s14, s13
	s_add_i32 s13, s0, 0
	s_xor_b32 exec_lo, exec_lo, s14
	s_cbranch_execz .LBB5_17
; %bb.16:
	v_lshlrev_b32_e32 v1, 2, v2
	s_delay_alu instid0(VALU_DEP_1) | instskip(SKIP_4) | instid1(VALU_DEP_2)
	v_add_nc_u32_e32 v5, 0, v1
	ds_load_b32 v5, v5
	s_waitcnt lgkmcnt(0)
	v_mul_f32_e32 v7, 0x4f800000, v5
	v_cmp_gt_f32_e32 vcc_lo, 0xf800000, v5
	v_cndmask_b32_e32 v5, v5, v7, vcc_lo
	s_delay_alu instid0(VALU_DEP_1) | instskip(SKIP_3) | instid1(VALU_DEP_2)
	v_sqrt_f32_e32 v7, v5
	s_waitcnt_depctr 0xfff
	v_add_nc_u32_e32 v8, -1, v7
	v_add_nc_u32_e32 v9, 1, v7
	v_fma_f32 v10, -v8, v7, v5
	s_delay_alu instid0(VALU_DEP_2) | instskip(NEXT) | instid1(VALU_DEP_2)
	v_fma_f32 v11, -v9, v7, v5
	v_cmp_ge_f32_e64 s0, 0, v10
	s_delay_alu instid0(VALU_DEP_1) | instskip(NEXT) | instid1(VALU_DEP_3)
	v_cndmask_b32_e64 v7, v7, v8, s0
	v_cmp_lt_f32_e64 s0, 0, v11
	s_delay_alu instid0(VALU_DEP_1) | instskip(NEXT) | instid1(VALU_DEP_1)
	v_cndmask_b32_e64 v7, v7, v9, s0
	v_dual_mul_f32 v8, 0x37800000, v7 :: v_dual_add_nc_u32 v1, s13, v1
	s_delay_alu instid0(VALU_DEP_1) | instskip(SKIP_1) | instid1(VALU_DEP_2)
	v_cndmask_b32_e32 v7, v7, v8, vcc_lo
	v_cmp_class_f32_e64 vcc_lo, v5, 0x260
	v_cndmask_b32_e32 v5, v7, v5, vcc_lo
	s_delay_alu instid0(VALU_DEP_1) | instskip(SKIP_1) | instid1(VALU_DEP_2)
	v_div_scale_f32 v7, null, v5, v5, 1.0
	v_div_scale_f32 v10, vcc_lo, 1.0, v5, 1.0
	v_rcp_f32_e32 v9, v7
	s_waitcnt_depctr 0xfff
	v_fma_f32 v8, -v7, v9, 1.0
	s_delay_alu instid0(VALU_DEP_1) | instskip(NEXT) | instid1(VALU_DEP_1)
	v_fmac_f32_e32 v9, v8, v9
	v_mul_f32_e32 v11, v10, v9
	s_delay_alu instid0(VALU_DEP_1) | instskip(NEXT) | instid1(VALU_DEP_1)
	v_fma_f32 v8, -v7, v11, v10
	v_fmac_f32_e32 v11, v8, v9
	s_delay_alu instid0(VALU_DEP_1) | instskip(SKIP_1) | instid1(VALU_DEP_2)
	v_fma_f32 v10, -v7, v11, v10
	v_lshlrev_b64 v[7:8], 2, v[3:4]
	v_div_fmas_f32 v9, v10, v9, v11
	s_delay_alu instid0(VALU_DEP_2) | instskip(NEXT) | instid1(VALU_DEP_3)
	v_add_co_u32 v7, vcc_lo, s6, v7
	v_add_co_ci_u32_e32 v8, vcc_lo, s7, v8, vcc_lo
	s_delay_alu instid0(VALU_DEP_3)
	v_div_fixup_f32 v9, v9, v5, 1.0
	global_store_b32 v[7:8], v5, off
	ds_store_b32 v1, v9
.LBB5_17:
	s_or_b32 exec_lo, exec_lo, s14
	s_waitcnt lgkmcnt(0)
	s_waitcnt_vscnt null, 0x0
	s_barrier
	buffer_gl0_inv
	s_and_saveexec_b32 s0, s12
	s_cbranch_execz .LBB5_20
; %bb.18:
	v_lshlrev_b64 v[3:4], 2, v[3:4]
	v_lshl_add_u32 v1, v2, 2, s13
	s_mov_b32 s6, 0
	ds_load_b32 v2, v1
	v_add_co_u32 v3, vcc_lo, s10, v3
	v_add_co_ci_u32_e32 v4, vcc_lo, s11, v4, vcc_lo
	global_load_b32 v3, v[3:4], off
	.p2align	6
.LBB5_19:                               ; =>This Inner Loop Header: Depth=1
	v_ashrrev_i32_e32 v1, 31, v0
	s_delay_alu instid0(VALU_DEP_1) | instskip(SKIP_1) | instid1(VALU_DEP_2)
	v_lshlrev_b64 v[4:5], 2, v[0:1]
	v_add_nc_u32_e32 v0, s2, v0
	v_add_co_u32 v7, vcc_lo, s8, v4
	s_delay_alu instid0(VALU_DEP_3) | instskip(SKIP_1) | instid1(VALU_DEP_1)
	v_add_co_ci_u32_e32 v8, vcc_lo, s9, v5, vcc_lo
	v_add_co_u32 v4, s0, s4, v4
	v_add_co_ci_u32_e64 v5, s0, s5, v5, s0
	global_load_b32 v1, v[7:8], off
	s_waitcnt vmcnt(0)
	v_dual_mul_f32 v1, v3, v1 :: v_dual_add_nc_u32 v6, s1, v6
	s_delay_alu instid0(VALU_DEP_1) | instskip(SKIP_1) | instid1(VALU_DEP_2)
	v_cmp_le_i32_e32 vcc_lo, s3, v6
	s_waitcnt lgkmcnt(0)
	v_mul_f32_e32 v1, v2, v1
	s_or_b32 s6, vcc_lo, s6
	global_store_b32 v[4:5], v1, off
	s_and_not1_b32 exec_lo, exec_lo, s6
	s_cbranch_execnz .LBB5_19
.LBB5_20:
	s_nop 0
	s_sendmsg sendmsg(MSG_DEALLOC_VGPRS)
	s_endpgm
	.p2align	6
.LBB5_21:                               ;   in Loop: Header=BB5_22 Depth=1
	s_or_b32 exec_lo, exec_lo, s16
	s_lshr_b32 s16, s14, 1
	s_cmpk_lt_u32 s14, 0x80
	s_mov_b32 s14, s16
	s_waitcnt lgkmcnt(0)
	s_barrier
	buffer_gl0_inv
	s_cbranch_scc1 .LBB5_7
.LBB5_22:                               ; =>This Inner Loop Header: Depth=1
	s_mov_b32 s16, exec_lo
	v_cmpx_gt_i32_e64 s14, v5
	s_cbranch_execz .LBB5_21
; %bb.23:                               ;   in Loop: Header=BB5_22 Depth=1
	v_lshl_add_u32 v7, s14, 2, v4
	ds_load_b32 v8, v4
	ds_load_b32 v7, v7
	s_waitcnt lgkmcnt(0)
	v_add_f32_e32 v7, v8, v7
	ds_store_b32 v4, v7
	s_branch .LBB5_21
	.section	.rodata,"a",@progbits
	.p2align	6, 0x0
	.amdhsa_kernel _ZN2at6native12_GLOBAL__N_131weight_norm_fwd_last_dim_kernelIffEEvPT_PT0_PKS3_S8_ii
		.amdhsa_group_segment_fixed_size 0
		.amdhsa_private_segment_fixed_size 0
		.amdhsa_kernarg_size 296
		.amdhsa_user_sgpr_count 15
		.amdhsa_user_sgpr_dispatch_ptr 0
		.amdhsa_user_sgpr_queue_ptr 0
		.amdhsa_user_sgpr_kernarg_segment_ptr 1
		.amdhsa_user_sgpr_dispatch_id 0
		.amdhsa_user_sgpr_private_segment_size 0
		.amdhsa_wavefront_size32 1
		.amdhsa_uses_dynamic_stack 0
		.amdhsa_enable_private_segment 0
		.amdhsa_system_sgpr_workgroup_id_x 1
		.amdhsa_system_sgpr_workgroup_id_y 0
		.amdhsa_system_sgpr_workgroup_id_z 0
		.amdhsa_system_sgpr_workgroup_info 0
		.amdhsa_system_vgpr_workitem_id 1
		.amdhsa_next_free_vgpr 12
		.amdhsa_next_free_sgpr 17
		.amdhsa_reserve_vcc 1
		.amdhsa_float_round_mode_32 0
		.amdhsa_float_round_mode_16_64 0
		.amdhsa_float_denorm_mode_32 3
		.amdhsa_float_denorm_mode_16_64 3
		.amdhsa_dx10_clamp 1
		.amdhsa_ieee_mode 1
		.amdhsa_fp16_overflow 0
		.amdhsa_workgroup_processor_mode 1
		.amdhsa_memory_ordered 1
		.amdhsa_forward_progress 0
		.amdhsa_shared_vgpr_count 0
		.amdhsa_exception_fp_ieee_invalid_op 0
		.amdhsa_exception_fp_denorm_src 0
		.amdhsa_exception_fp_ieee_div_zero 0
		.amdhsa_exception_fp_ieee_overflow 0
		.amdhsa_exception_fp_ieee_underflow 0
		.amdhsa_exception_fp_ieee_inexact 0
		.amdhsa_exception_int_div_zero 0
	.end_amdhsa_kernel
	.section	.text._ZN2at6native12_GLOBAL__N_131weight_norm_fwd_last_dim_kernelIffEEvPT_PT0_PKS3_S8_ii,"axG",@progbits,_ZN2at6native12_GLOBAL__N_131weight_norm_fwd_last_dim_kernelIffEEvPT_PT0_PKS3_S8_ii,comdat
.Lfunc_end5:
	.size	_ZN2at6native12_GLOBAL__N_131weight_norm_fwd_last_dim_kernelIffEEvPT_PT0_PKS3_S8_ii, .Lfunc_end5-_ZN2at6native12_GLOBAL__N_131weight_norm_fwd_last_dim_kernelIffEEvPT_PT0_PKS3_S8_ii
                                        ; -- End function
	.section	.AMDGPU.csdata,"",@progbits
; Kernel info:
; codeLenInByte = 1092
; NumSgprs: 19
; NumVgprs: 12
; ScratchSize: 0
; MemoryBound: 0
; FloatMode: 240
; IeeeMode: 1
; LDSByteSize: 0 bytes/workgroup (compile time only)
; SGPRBlocks: 2
; VGPRBlocks: 1
; NumSGPRsForWavesPerEU: 19
; NumVGPRsForWavesPerEU: 12
; Occupancy: 16
; WaveLimiterHint : 0
; COMPUTE_PGM_RSRC2:SCRATCH_EN: 0
; COMPUTE_PGM_RSRC2:USER_SGPR: 15
; COMPUTE_PGM_RSRC2:TRAP_HANDLER: 0
; COMPUTE_PGM_RSRC2:TGID_X_EN: 1
; COMPUTE_PGM_RSRC2:TGID_Y_EN: 0
; COMPUTE_PGM_RSRC2:TGID_Z_EN: 0
; COMPUTE_PGM_RSRC2:TIDIG_COMP_CNT: 1
	.section	.text._ZN2at6native12_GLOBAL__N_131weight_norm_fwd_last_dim_kernelIN3c108BFloat16EfEEvPT_PT0_PKS5_SA_ii,"axG",@progbits,_ZN2at6native12_GLOBAL__N_131weight_norm_fwd_last_dim_kernelIN3c108BFloat16EfEEvPT_PT0_PKS5_SA_ii,comdat
	.globl	_ZN2at6native12_GLOBAL__N_131weight_norm_fwd_last_dim_kernelIN3c108BFloat16EfEEvPT_PT0_PKS5_SA_ii ; -- Begin function _ZN2at6native12_GLOBAL__N_131weight_norm_fwd_last_dim_kernelIN3c108BFloat16EfEEvPT_PT0_PKS5_SA_ii
	.p2align	8
	.type	_ZN2at6native12_GLOBAL__N_131weight_norm_fwd_last_dim_kernelIN3c108BFloat16EfEEvPT_PT0_PKS5_SA_ii,@function
_ZN2at6native12_GLOBAL__N_131weight_norm_fwd_last_dim_kernelIN3c108BFloat16EfEEvPT_PT0_PKS5_SA_ii: ; @_ZN2at6native12_GLOBAL__N_131weight_norm_fwd_last_dim_kernelIN3c108BFloat16EfEEvPT_PT0_PKS5_SA_ii
; %bb.0:
	s_clause 0x1
	s_load_b32 s12, s[0:1], 0x34
	s_load_b64 s[2:3], s[0:1], 0x20
	v_and_b32_e32 v2, 0x3ff, v0
	s_load_b256 s[4:11], s[0:1], 0x0
	v_bfe_u32 v6, v0, 10, 10
	s_waitcnt lgkmcnt(0)
	s_and_b32 s13, s12, 0xffff
	s_delay_alu instid0(VALU_DEP_1) | instskip(SKIP_2) | instid1(VALU_DEP_1)
	v_cmp_gt_i32_e64 s0, s3, v6
	v_mad_u64_u32 v[3:4], null, s15, s13, v[2:3]
	s_lshr_b32 s1, s12, 16
	v_mad_u64_u32 v[0:1], null, v6, s2, v[3:4]
	v_mov_b32_e32 v1, 0
	v_cmp_gt_i32_e32 vcc_lo, s2, v3
	s_mul_i32 s2, s1, s2
	s_and_b32 s12, vcc_lo, s0
	s_delay_alu instid0(SALU_CYCLE_1)
	s_and_saveexec_b32 s0, s12
	s_cbranch_execz .LBB6_4
; %bb.1:
	s_delay_alu instid0(VALU_DEP_3)
	v_dual_mov_b32 v1, 0 :: v_dual_mov_b32 v4, v0
	v_mov_b32_e32 v7, v6
	s_mov_b32 s14, 0
.LBB6_2:                                ; =>This Inner Loop Header: Depth=1
	s_delay_alu instid0(VALU_DEP_2) | instskip(NEXT) | instid1(VALU_DEP_2)
	v_ashrrev_i32_e32 v5, 31, v4
	v_add_nc_u32_e32 v7, s1, v7
	s_delay_alu instid0(VALU_DEP_2) | instskip(SKIP_1) | instid1(VALU_DEP_2)
	v_lshlrev_b64 v[8:9], 1, v[4:5]
	v_add_nc_u32_e32 v4, s2, v4
	v_add_co_u32 v8, vcc_lo, s8, v8
	s_delay_alu instid0(VALU_DEP_3)
	v_add_co_ci_u32_e32 v9, vcc_lo, s9, v9, vcc_lo
	v_cmp_le_i32_e32 vcc_lo, s3, v7
	global_load_u16 v5, v[8:9], off
	s_or_b32 s14, vcc_lo, s14
	s_waitcnt vmcnt(0)
	v_lshlrev_b32_e32 v5, 16, v5
	s_delay_alu instid0(VALU_DEP_1)
	v_fmac_f32_e32 v1, v5, v5
	s_and_not1_b32 exec_lo, exec_lo, s14
	s_cbranch_execnz .LBB6_2
; %bb.3:
	s_or_b32 exec_lo, exec_lo, s14
.LBB6_4:
	s_delay_alu instid0(SALU_CYCLE_1) | instskip(SKIP_2) | instid1(SALU_CYCLE_1)
	s_or_b32 exec_lo, exec_lo, s0
	v_mad_u32_u24 v5, v6, s13, v2
	s_mul_i32 s0, s1, s13
	s_cmp_gt_i32 s0, 63
	s_cselect_b32 s15, -1, 0
	s_delay_alu instid0(VALU_DEP_1)
	v_lshl_add_u32 v4, v5, 2, 0
	s_cmp_lt_i32 s0, 64
	s_cbranch_scc1 .LBB6_6
; %bb.5:
	ds_store_b32 v4, v1
	s_waitcnt lgkmcnt(0)
	s_barrier
	buffer_gl0_inv
.LBB6_6:
	s_ashr_i32 s14, s0, 1
	s_delay_alu instid0(SALU_CYCLE_1)
	s_cmp_lt_i32 s14, 64
	s_cbranch_scc0 .LBB6_22
.LBB6_7:
	s_mov_b32 s14, exec_lo
	v_cmpx_gt_u32_e32 32, v5
	s_cbranch_execz .LBB6_15
; %bb.8:
	s_and_not1_b32 vcc_lo, exec_lo, s15
	s_cbranch_vccnz .LBB6_10
; %bb.9:
	ds_load_2addr_b32 v[7:8], v4 offset1:32
	s_waitcnt lgkmcnt(0)
	v_add_f32_e32 v1, v7, v8
.LBB6_10:
	s_cmp_gt_u32 s13, 16
	s_mov_b32 s15, 16
	s_cbranch_scc1 .LBB6_13
; %bb.11:
	v_mbcnt_lo_u32_b32 v7, -1, 0
.LBB6_12:                               ; =>This Inner Loop Header: Depth=1
	s_delay_alu instid0(VALU_DEP_1) | instskip(NEXT) | instid1(VALU_DEP_1)
	v_add_nc_u32_e32 v8, s15, v7
	v_cmp_gt_u32_e32 vcc_lo, 32, v8
	v_cndmask_b32_e64 v8, 0, s15, vcc_lo
	s_lshr_b32 s15, s15, 1
	s_delay_alu instid0(SALU_CYCLE_1) | instskip(NEXT) | instid1(VALU_DEP_1)
	s_cmp_lt_u32 s15, s13
	v_add_lshl_u32 v8, v8, v7, 2
	ds_bpermute_b32 v8, v8, v1
	s_waitcnt lgkmcnt(0)
	v_add_f32_e32 v1, v1, v8
	s_cbranch_scc0 .LBB6_12
.LBB6_13:
	v_cmp_gt_u32_e32 vcc_lo, s13, v5
	s_and_b32 exec_lo, exec_lo, vcc_lo
	s_cbranch_execz .LBB6_15
; %bb.14:
	ds_store_b32 v4, v1
.LBB6_15:
	s_or_b32 exec_lo, exec_lo, s14
	v_ashrrev_i32_e32 v4, 31, v3
	s_mov_b32 s13, exec_lo
	s_lshl_b32 s0, s0, 2
	s_waitcnt lgkmcnt(0)
	s_barrier
	buffer_gl0_inv
	v_cmpx_ne_u32_e32 0, v6
	s_xor_b32 s13, exec_lo, s13
	s_delay_alu instid0(SALU_CYCLE_1)
	s_or_saveexec_b32 s14, s13
	s_add_i32 s13, s0, 0
	s_xor_b32 exec_lo, exec_lo, s14
	s_cbranch_execz .LBB6_17
; %bb.16:
	v_lshlrev_b32_e32 v1, 2, v2
	s_delay_alu instid0(VALU_DEP_1) | instskip(SKIP_4) | instid1(VALU_DEP_2)
	v_add_nc_u32_e32 v5, 0, v1
	ds_load_b32 v5, v5
	s_waitcnt lgkmcnt(0)
	v_mul_f32_e32 v7, 0x4f800000, v5
	v_cmp_gt_f32_e32 vcc_lo, 0xf800000, v5
	v_cndmask_b32_e32 v5, v5, v7, vcc_lo
	s_delay_alu instid0(VALU_DEP_1) | instskip(SKIP_3) | instid1(VALU_DEP_2)
	v_sqrt_f32_e32 v7, v5
	s_waitcnt_depctr 0xfff
	v_add_nc_u32_e32 v8, -1, v7
	v_add_nc_u32_e32 v9, 1, v7
	v_fma_f32 v10, -v8, v7, v5
	s_delay_alu instid0(VALU_DEP_2) | instskip(NEXT) | instid1(VALU_DEP_2)
	v_fma_f32 v11, -v9, v7, v5
	v_cmp_ge_f32_e64 s0, 0, v10
	s_delay_alu instid0(VALU_DEP_1) | instskip(NEXT) | instid1(VALU_DEP_3)
	v_cndmask_b32_e64 v7, v7, v8, s0
	v_cmp_lt_f32_e64 s0, 0, v11
	s_delay_alu instid0(VALU_DEP_1) | instskip(NEXT) | instid1(VALU_DEP_1)
	v_cndmask_b32_e64 v7, v7, v9, s0
	v_dual_mul_f32 v8, 0x37800000, v7 :: v_dual_add_nc_u32 v1, s13, v1
	s_delay_alu instid0(VALU_DEP_1) | instskip(SKIP_1) | instid1(VALU_DEP_2)
	v_cndmask_b32_e32 v7, v7, v8, vcc_lo
	v_cmp_class_f32_e64 vcc_lo, v5, 0x260
	v_cndmask_b32_e32 v5, v7, v5, vcc_lo
	s_delay_alu instid0(VALU_DEP_1) | instskip(SKIP_1) | instid1(VALU_DEP_2)
	v_div_scale_f32 v7, null, v5, v5, 1.0
	v_div_scale_f32 v10, vcc_lo, 1.0, v5, 1.0
	v_rcp_f32_e32 v9, v7
	s_waitcnt_depctr 0xfff
	v_fma_f32 v8, -v7, v9, 1.0
	s_delay_alu instid0(VALU_DEP_1) | instskip(NEXT) | instid1(VALU_DEP_1)
	v_fmac_f32_e32 v9, v8, v9
	v_mul_f32_e32 v11, v10, v9
	s_delay_alu instid0(VALU_DEP_1) | instskip(NEXT) | instid1(VALU_DEP_1)
	v_fma_f32 v8, -v7, v11, v10
	v_fmac_f32_e32 v11, v8, v9
	s_delay_alu instid0(VALU_DEP_1) | instskip(SKIP_1) | instid1(VALU_DEP_2)
	v_fma_f32 v10, -v7, v11, v10
	v_lshlrev_b64 v[7:8], 2, v[3:4]
	v_div_fmas_f32 v9, v10, v9, v11
	s_delay_alu instid0(VALU_DEP_2) | instskip(NEXT) | instid1(VALU_DEP_3)
	v_add_co_u32 v7, vcc_lo, s6, v7
	v_add_co_ci_u32_e32 v8, vcc_lo, s7, v8, vcc_lo
	s_delay_alu instid0(VALU_DEP_3)
	v_div_fixup_f32 v9, v9, v5, 1.0
	global_store_b32 v[7:8], v5, off
	ds_store_b32 v1, v9
.LBB6_17:
	s_or_b32 exec_lo, exec_lo, s14
	s_waitcnt lgkmcnt(0)
	s_waitcnt_vscnt null, 0x0
	s_barrier
	buffer_gl0_inv
	s_and_saveexec_b32 s0, s12
	s_cbranch_execz .LBB6_20
; %bb.18:
	v_lshlrev_b64 v[3:4], 1, v[3:4]
	v_lshl_add_u32 v2, v2, 2, s13
	s_mov_b32 s6, 0
	ds_load_b32 v2, v2
	v_add_co_u32 v3, vcc_lo, s10, v3
	v_add_co_ci_u32_e32 v4, vcc_lo, s11, v4, vcc_lo
	global_load_u16 v1, v[3:4], off
	s_waitcnt vmcnt(0)
	v_lshlrev_b32_e32 v3, 16, v1
	s_set_inst_prefetch_distance 0x1
	.p2align	6
.LBB6_19:                               ; =>This Inner Loop Header: Depth=1
	v_ashrrev_i32_e32 v1, 31, v0
	v_add_nc_u32_e32 v6, s1, v6
	s_delay_alu instid0(VALU_DEP_2) | instskip(SKIP_1) | instid1(VALU_DEP_2)
	v_lshlrev_b64 v[4:5], 1, v[0:1]
	v_add_nc_u32_e32 v0, s2, v0
	v_add_co_u32 v7, vcc_lo, s8, v4
	s_delay_alu instid0(VALU_DEP_3)
	v_add_co_ci_u32_e32 v8, vcc_lo, s9, v5, vcc_lo
	v_cmp_le_i32_e32 vcc_lo, s3, v6
	global_load_u16 v1, v[7:8], off
	s_or_b32 s6, vcc_lo, s6
	s_waitcnt vmcnt(0)
	v_lshlrev_b32_e32 v1, 16, v1
	s_delay_alu instid0(VALU_DEP_1) | instskip(SKIP_1) | instid1(VALU_DEP_1)
	v_mul_f32_e32 v1, v3, v1
	s_waitcnt lgkmcnt(0)
	v_mul_f32_e32 v1, v2, v1
	s_delay_alu instid0(VALU_DEP_1) | instskip(SKIP_1) | instid1(VALU_DEP_2)
	v_bfe_u32 v7, v1, 16, 1
	v_cmp_o_f32_e64 s0, v1, v1
	v_add3_u32 v7, v1, v7, 0x7fff
	s_delay_alu instid0(VALU_DEP_1) | instskip(NEXT) | instid1(VALU_DEP_1)
	v_lshrrev_b32_e32 v7, 16, v7
	v_cndmask_b32_e64 v1, 0x7fc0, v7, s0
	v_add_co_u32 v4, s0, s4, v4
	s_delay_alu instid0(VALU_DEP_1)
	v_add_co_ci_u32_e64 v5, s0, s5, v5, s0
	global_store_b16 v[4:5], v1, off
	s_and_not1_b32 exec_lo, exec_lo, s6
	s_cbranch_execnz .LBB6_19
.LBB6_20:
	s_set_inst_prefetch_distance 0x2
	s_nop 0
	s_sendmsg sendmsg(MSG_DEALLOC_VGPRS)
	s_endpgm
	.p2align	6
.LBB6_21:                               ;   in Loop: Header=BB6_22 Depth=1
	s_or_b32 exec_lo, exec_lo, s16
	s_lshr_b32 s16, s14, 1
	s_cmpk_lt_u32 s14, 0x80
	s_mov_b32 s14, s16
	s_waitcnt lgkmcnt(0)
	s_barrier
	buffer_gl0_inv
	s_cbranch_scc1 .LBB6_7
.LBB6_22:                               ; =>This Inner Loop Header: Depth=1
	s_mov_b32 s16, exec_lo
	v_cmpx_gt_i32_e64 s14, v5
	s_cbranch_execz .LBB6_21
; %bb.23:                               ;   in Loop: Header=BB6_22 Depth=1
	v_lshl_add_u32 v7, s14, 2, v4
	ds_load_b32 v8, v4
	ds_load_b32 v7, v7
	s_waitcnt lgkmcnt(0)
	v_add_f32_e32 v7, v8, v7
	ds_store_b32 v4, v7
	s_branch .LBB6_21
	.section	.rodata,"a",@progbits
	.p2align	6, 0x0
	.amdhsa_kernel _ZN2at6native12_GLOBAL__N_131weight_norm_fwd_last_dim_kernelIN3c108BFloat16EfEEvPT_PT0_PKS5_SA_ii
		.amdhsa_group_segment_fixed_size 0
		.amdhsa_private_segment_fixed_size 0
		.amdhsa_kernarg_size 296
		.amdhsa_user_sgpr_count 15
		.amdhsa_user_sgpr_dispatch_ptr 0
		.amdhsa_user_sgpr_queue_ptr 0
		.amdhsa_user_sgpr_kernarg_segment_ptr 1
		.amdhsa_user_sgpr_dispatch_id 0
		.amdhsa_user_sgpr_private_segment_size 0
		.amdhsa_wavefront_size32 1
		.amdhsa_uses_dynamic_stack 0
		.amdhsa_enable_private_segment 0
		.amdhsa_system_sgpr_workgroup_id_x 1
		.amdhsa_system_sgpr_workgroup_id_y 0
		.amdhsa_system_sgpr_workgroup_id_z 0
		.amdhsa_system_sgpr_workgroup_info 0
		.amdhsa_system_vgpr_workitem_id 1
		.amdhsa_next_free_vgpr 12
		.amdhsa_next_free_sgpr 17
		.amdhsa_reserve_vcc 1
		.amdhsa_float_round_mode_32 0
		.amdhsa_float_round_mode_16_64 0
		.amdhsa_float_denorm_mode_32 3
		.amdhsa_float_denorm_mode_16_64 3
		.amdhsa_dx10_clamp 1
		.amdhsa_ieee_mode 1
		.amdhsa_fp16_overflow 0
		.amdhsa_workgroup_processor_mode 1
		.amdhsa_memory_ordered 1
		.amdhsa_forward_progress 0
		.amdhsa_shared_vgpr_count 0
		.amdhsa_exception_fp_ieee_invalid_op 0
		.amdhsa_exception_fp_denorm_src 0
		.amdhsa_exception_fp_ieee_div_zero 0
		.amdhsa_exception_fp_ieee_overflow 0
		.amdhsa_exception_fp_ieee_underflow 0
		.amdhsa_exception_fp_ieee_inexact 0
		.amdhsa_exception_int_div_zero 0
	.end_amdhsa_kernel
	.section	.text._ZN2at6native12_GLOBAL__N_131weight_norm_fwd_last_dim_kernelIN3c108BFloat16EfEEvPT_PT0_PKS5_SA_ii,"axG",@progbits,_ZN2at6native12_GLOBAL__N_131weight_norm_fwd_last_dim_kernelIN3c108BFloat16EfEEvPT_PT0_PKS5_SA_ii,comdat
.Lfunc_end6:
	.size	_ZN2at6native12_GLOBAL__N_131weight_norm_fwd_last_dim_kernelIN3c108BFloat16EfEEvPT_PT0_PKS5_SA_ii, .Lfunc_end6-_ZN2at6native12_GLOBAL__N_131weight_norm_fwd_last_dim_kernelIN3c108BFloat16EfEEvPT_PT0_PKS5_SA_ii
                                        ; -- End function
	.section	.AMDGPU.csdata,"",@progbits
; Kernel info:
; codeLenInByte = 1176
; NumSgprs: 19
; NumVgprs: 12
; ScratchSize: 0
; MemoryBound: 0
; FloatMode: 240
; IeeeMode: 1
; LDSByteSize: 0 bytes/workgroup (compile time only)
; SGPRBlocks: 2
; VGPRBlocks: 1
; NumSGPRsForWavesPerEU: 19
; NumVGPRsForWavesPerEU: 12
; Occupancy: 16
; WaveLimiterHint : 0
; COMPUTE_PGM_RSRC2:SCRATCH_EN: 0
; COMPUTE_PGM_RSRC2:USER_SGPR: 15
; COMPUTE_PGM_RSRC2:TRAP_HANDLER: 0
; COMPUTE_PGM_RSRC2:TGID_X_EN: 1
; COMPUTE_PGM_RSRC2:TGID_Y_EN: 0
; COMPUTE_PGM_RSRC2:TGID_Z_EN: 0
; COMPUTE_PGM_RSRC2:TIDIG_COMP_CNT: 1
	.section	.text._ZN2at6native12_GLOBAL__N_131weight_norm_fwd_last_dim_kernelIN3c104HalfEfEEvPT_PT0_PKS5_SA_ii,"axG",@progbits,_ZN2at6native12_GLOBAL__N_131weight_norm_fwd_last_dim_kernelIN3c104HalfEfEEvPT_PT0_PKS5_SA_ii,comdat
	.globl	_ZN2at6native12_GLOBAL__N_131weight_norm_fwd_last_dim_kernelIN3c104HalfEfEEvPT_PT0_PKS5_SA_ii ; -- Begin function _ZN2at6native12_GLOBAL__N_131weight_norm_fwd_last_dim_kernelIN3c104HalfEfEEvPT_PT0_PKS5_SA_ii
	.p2align	8
	.type	_ZN2at6native12_GLOBAL__N_131weight_norm_fwd_last_dim_kernelIN3c104HalfEfEEvPT_PT0_PKS5_SA_ii,@function
_ZN2at6native12_GLOBAL__N_131weight_norm_fwd_last_dim_kernelIN3c104HalfEfEEvPT_PT0_PKS5_SA_ii: ; @_ZN2at6native12_GLOBAL__N_131weight_norm_fwd_last_dim_kernelIN3c104HalfEfEEvPT_PT0_PKS5_SA_ii
; %bb.0:
	s_clause 0x1
	s_load_b32 s12, s[0:1], 0x34
	s_load_b64 s[2:3], s[0:1], 0x20
	v_and_b32_e32 v2, 0x3ff, v0
	s_load_b256 s[4:11], s[0:1], 0x0
	v_bfe_u32 v6, v0, 10, 10
	s_waitcnt lgkmcnt(0)
	s_and_b32 s13, s12, 0xffff
	s_delay_alu instid0(VALU_DEP_1) | instskip(SKIP_2) | instid1(VALU_DEP_1)
	v_cmp_gt_i32_e64 s0, s3, v6
	v_mad_u64_u32 v[3:4], null, s15, s13, v[2:3]
	s_lshr_b32 s1, s12, 16
	v_mad_u64_u32 v[0:1], null, v6, s2, v[3:4]
	v_mov_b32_e32 v1, 0
	v_cmp_gt_i32_e32 vcc_lo, s2, v3
	s_mul_i32 s2, s1, s2
	s_and_b32 s12, vcc_lo, s0
	s_delay_alu instid0(SALU_CYCLE_1)
	s_and_saveexec_b32 s0, s12
	s_cbranch_execz .LBB7_4
; %bb.1:
	s_delay_alu instid0(VALU_DEP_3)
	v_dual_mov_b32 v1, 0 :: v_dual_mov_b32 v4, v0
	v_mov_b32_e32 v7, v6
	s_mov_b32 s14, 0
.LBB7_2:                                ; =>This Inner Loop Header: Depth=1
	s_delay_alu instid0(VALU_DEP_2) | instskip(NEXT) | instid1(VALU_DEP_2)
	v_ashrrev_i32_e32 v5, 31, v4
	v_add_nc_u32_e32 v7, s1, v7
	s_delay_alu instid0(VALU_DEP_2) | instskip(SKIP_1) | instid1(VALU_DEP_2)
	v_lshlrev_b64 v[8:9], 1, v[4:5]
	v_add_nc_u32_e32 v4, s2, v4
	v_add_co_u32 v8, vcc_lo, s8, v8
	s_delay_alu instid0(VALU_DEP_3)
	v_add_co_ci_u32_e32 v9, vcc_lo, s9, v9, vcc_lo
	v_cmp_le_i32_e32 vcc_lo, s3, v7
	global_load_u16 v5, v[8:9], off
	s_or_b32 s14, vcc_lo, s14
	s_waitcnt vmcnt(0)
	v_fma_mix_f32 v1, v5, v5, v1 op_sel_hi:[1,1,0]
	s_and_not1_b32 exec_lo, exec_lo, s14
	s_cbranch_execnz .LBB7_2
; %bb.3:
	s_or_b32 exec_lo, exec_lo, s14
.LBB7_4:
	s_delay_alu instid0(SALU_CYCLE_1) | instskip(SKIP_2) | instid1(SALU_CYCLE_1)
	s_or_b32 exec_lo, exec_lo, s0
	v_mad_u32_u24 v5, v6, s13, v2
	s_mul_i32 s0, s1, s13
	s_cmp_gt_i32 s0, 63
	s_cselect_b32 s15, -1, 0
	s_delay_alu instid0(VALU_DEP_1)
	v_lshl_add_u32 v4, v5, 2, 0
	s_cmp_lt_i32 s0, 64
	s_cbranch_scc1 .LBB7_6
; %bb.5:
	ds_store_b32 v4, v1
	s_waitcnt lgkmcnt(0)
	s_barrier
	buffer_gl0_inv
.LBB7_6:
	s_ashr_i32 s14, s0, 1
	s_delay_alu instid0(SALU_CYCLE_1)
	s_cmp_lt_i32 s14, 64
	s_cbranch_scc0 .LBB7_22
.LBB7_7:
	s_mov_b32 s14, exec_lo
	v_cmpx_gt_u32_e32 32, v5
	s_cbranch_execz .LBB7_15
; %bb.8:
	s_and_not1_b32 vcc_lo, exec_lo, s15
	s_cbranch_vccnz .LBB7_10
; %bb.9:
	ds_load_2addr_b32 v[7:8], v4 offset1:32
	s_waitcnt lgkmcnt(0)
	v_add_f32_e32 v1, v7, v8
.LBB7_10:
	s_cmp_gt_u32 s13, 16
	s_mov_b32 s15, 16
	s_cbranch_scc1 .LBB7_13
; %bb.11:
	v_mbcnt_lo_u32_b32 v7, -1, 0
.LBB7_12:                               ; =>This Inner Loop Header: Depth=1
	s_delay_alu instid0(VALU_DEP_1) | instskip(NEXT) | instid1(VALU_DEP_1)
	v_add_nc_u32_e32 v8, s15, v7
	v_cmp_gt_u32_e32 vcc_lo, 32, v8
	v_cndmask_b32_e64 v8, 0, s15, vcc_lo
	s_lshr_b32 s15, s15, 1
	s_delay_alu instid0(SALU_CYCLE_1) | instskip(NEXT) | instid1(VALU_DEP_1)
	s_cmp_lt_u32 s15, s13
	v_add_lshl_u32 v8, v8, v7, 2
	ds_bpermute_b32 v8, v8, v1
	s_waitcnt lgkmcnt(0)
	v_add_f32_e32 v1, v1, v8
	s_cbranch_scc0 .LBB7_12
.LBB7_13:
	v_cmp_gt_u32_e32 vcc_lo, s13, v5
	s_and_b32 exec_lo, exec_lo, vcc_lo
	s_cbranch_execz .LBB7_15
; %bb.14:
	ds_store_b32 v4, v1
.LBB7_15:
	s_or_b32 exec_lo, exec_lo, s14
	v_ashrrev_i32_e32 v4, 31, v3
	s_mov_b32 s13, exec_lo
	s_lshl_b32 s0, s0, 2
	s_waitcnt lgkmcnt(0)
	s_barrier
	buffer_gl0_inv
	v_cmpx_ne_u32_e32 0, v6
	s_xor_b32 s13, exec_lo, s13
	s_delay_alu instid0(SALU_CYCLE_1)
	s_or_saveexec_b32 s14, s13
	s_add_i32 s13, s0, 0
	s_xor_b32 exec_lo, exec_lo, s14
	s_cbranch_execz .LBB7_17
; %bb.16:
	v_lshlrev_b32_e32 v1, 2, v2
	s_delay_alu instid0(VALU_DEP_1) | instskip(SKIP_4) | instid1(VALU_DEP_2)
	v_add_nc_u32_e32 v5, 0, v1
	ds_load_b32 v5, v5
	s_waitcnt lgkmcnt(0)
	v_mul_f32_e32 v7, 0x4f800000, v5
	v_cmp_gt_f32_e32 vcc_lo, 0xf800000, v5
	v_cndmask_b32_e32 v5, v5, v7, vcc_lo
	s_delay_alu instid0(VALU_DEP_1) | instskip(SKIP_3) | instid1(VALU_DEP_2)
	v_sqrt_f32_e32 v7, v5
	s_waitcnt_depctr 0xfff
	v_add_nc_u32_e32 v8, -1, v7
	v_add_nc_u32_e32 v9, 1, v7
	v_fma_f32 v10, -v8, v7, v5
	s_delay_alu instid0(VALU_DEP_2) | instskip(NEXT) | instid1(VALU_DEP_2)
	v_fma_f32 v11, -v9, v7, v5
	v_cmp_ge_f32_e64 s0, 0, v10
	s_delay_alu instid0(VALU_DEP_1) | instskip(NEXT) | instid1(VALU_DEP_3)
	v_cndmask_b32_e64 v7, v7, v8, s0
	v_cmp_lt_f32_e64 s0, 0, v11
	s_delay_alu instid0(VALU_DEP_1) | instskip(NEXT) | instid1(VALU_DEP_1)
	v_cndmask_b32_e64 v7, v7, v9, s0
	v_dual_mul_f32 v8, 0x37800000, v7 :: v_dual_add_nc_u32 v1, s13, v1
	s_delay_alu instid0(VALU_DEP_1) | instskip(SKIP_1) | instid1(VALU_DEP_2)
	v_cndmask_b32_e32 v7, v7, v8, vcc_lo
	v_cmp_class_f32_e64 vcc_lo, v5, 0x260
	v_cndmask_b32_e32 v5, v7, v5, vcc_lo
	s_delay_alu instid0(VALU_DEP_1) | instskip(SKIP_1) | instid1(VALU_DEP_2)
	v_div_scale_f32 v7, null, v5, v5, 1.0
	v_div_scale_f32 v10, vcc_lo, 1.0, v5, 1.0
	v_rcp_f32_e32 v9, v7
	s_waitcnt_depctr 0xfff
	v_fma_f32 v8, -v7, v9, 1.0
	s_delay_alu instid0(VALU_DEP_1) | instskip(NEXT) | instid1(VALU_DEP_1)
	v_fmac_f32_e32 v9, v8, v9
	v_mul_f32_e32 v11, v10, v9
	s_delay_alu instid0(VALU_DEP_1) | instskip(NEXT) | instid1(VALU_DEP_1)
	v_fma_f32 v8, -v7, v11, v10
	v_fmac_f32_e32 v11, v8, v9
	s_delay_alu instid0(VALU_DEP_1) | instskip(SKIP_1) | instid1(VALU_DEP_2)
	v_fma_f32 v10, -v7, v11, v10
	v_lshlrev_b64 v[7:8], 2, v[3:4]
	v_div_fmas_f32 v9, v10, v9, v11
	s_delay_alu instid0(VALU_DEP_2) | instskip(NEXT) | instid1(VALU_DEP_3)
	v_add_co_u32 v7, vcc_lo, s6, v7
	v_add_co_ci_u32_e32 v8, vcc_lo, s7, v8, vcc_lo
	s_delay_alu instid0(VALU_DEP_3)
	v_div_fixup_f32 v9, v9, v5, 1.0
	global_store_b32 v[7:8], v5, off
	ds_store_b32 v1, v9
.LBB7_17:
	s_or_b32 exec_lo, exec_lo, s14
	s_waitcnt lgkmcnt(0)
	s_waitcnt_vscnt null, 0x0
	s_barrier
	buffer_gl0_inv
	s_and_saveexec_b32 s0, s12
	s_cbranch_execz .LBB7_20
; %bb.18:
	v_lshlrev_b64 v[3:4], 1, v[3:4]
	v_lshl_add_u32 v2, v2, 2, s13
	s_mov_b32 s6, 0
	ds_load_b32 v2, v2
	v_add_co_u32 v3, vcc_lo, s10, v3
	v_add_co_ci_u32_e32 v4, vcc_lo, s11, v4, vcc_lo
	global_load_u16 v1, v[3:4], off
	s_waitcnt vmcnt(0)
	v_cvt_f32_f16_e32 v3, v1
	.p2align	6
.LBB7_19:                               ; =>This Inner Loop Header: Depth=1
	v_ashrrev_i32_e32 v1, 31, v0
	s_delay_alu instid0(VALU_DEP_1) | instskip(SKIP_1) | instid1(VALU_DEP_2)
	v_lshlrev_b64 v[4:5], 1, v[0:1]
	v_add_nc_u32_e32 v0, s2, v0
	v_add_co_u32 v7, vcc_lo, s8, v4
	s_delay_alu instid0(VALU_DEP_3) | instskip(SKIP_1) | instid1(VALU_DEP_1)
	v_add_co_ci_u32_e32 v8, vcc_lo, s9, v5, vcc_lo
	v_add_co_u32 v4, s0, s4, v4
	v_add_co_ci_u32_e64 v5, s0, s5, v5, s0
	global_load_u16 v1, v[7:8], off
	s_waitcnt vmcnt(0)
	v_cvt_f32_f16_e32 v1, v1
	s_delay_alu instid0(VALU_DEP_1) | instskip(NEXT) | instid1(VALU_DEP_1)
	v_dual_mul_f32 v1, v3, v1 :: v_dual_add_nc_u32 v6, s1, v6
	v_cmp_le_i32_e32 vcc_lo, s3, v6
	s_waitcnt lgkmcnt(0)
	s_delay_alu instid0(VALU_DEP_2)
	v_fma_mixlo_f16 v1, v2, v1, 0
	s_or_b32 s6, vcc_lo, s6
	global_store_b16 v[4:5], v1, off
	s_and_not1_b32 exec_lo, exec_lo, s6
	s_cbranch_execnz .LBB7_19
.LBB7_20:
	s_nop 0
	s_sendmsg sendmsg(MSG_DEALLOC_VGPRS)
	s_endpgm
	.p2align	6
.LBB7_21:                               ;   in Loop: Header=BB7_22 Depth=1
	s_or_b32 exec_lo, exec_lo, s16
	s_lshr_b32 s16, s14, 1
	s_cmpk_lt_u32 s14, 0x80
	s_mov_b32 s14, s16
	s_waitcnt lgkmcnt(0)
	s_barrier
	buffer_gl0_inv
	s_cbranch_scc1 .LBB7_7
.LBB7_22:                               ; =>This Inner Loop Header: Depth=1
	s_mov_b32 s16, exec_lo
	v_cmpx_gt_i32_e64 s14, v5
	s_cbranch_execz .LBB7_21
; %bb.23:                               ;   in Loop: Header=BB7_22 Depth=1
	v_lshl_add_u32 v7, s14, 2, v4
	ds_load_b32 v8, v4
	ds_load_b32 v7, v7
	s_waitcnt lgkmcnt(0)
	v_add_f32_e32 v7, v8, v7
	ds_store_b32 v4, v7
	s_branch .LBB7_21
	.section	.rodata,"a",@progbits
	.p2align	6, 0x0
	.amdhsa_kernel _ZN2at6native12_GLOBAL__N_131weight_norm_fwd_last_dim_kernelIN3c104HalfEfEEvPT_PT0_PKS5_SA_ii
		.amdhsa_group_segment_fixed_size 0
		.amdhsa_private_segment_fixed_size 0
		.amdhsa_kernarg_size 296
		.amdhsa_user_sgpr_count 15
		.amdhsa_user_sgpr_dispatch_ptr 0
		.amdhsa_user_sgpr_queue_ptr 0
		.amdhsa_user_sgpr_kernarg_segment_ptr 1
		.amdhsa_user_sgpr_dispatch_id 0
		.amdhsa_user_sgpr_private_segment_size 0
		.amdhsa_wavefront_size32 1
		.amdhsa_uses_dynamic_stack 0
		.amdhsa_enable_private_segment 0
		.amdhsa_system_sgpr_workgroup_id_x 1
		.amdhsa_system_sgpr_workgroup_id_y 0
		.amdhsa_system_sgpr_workgroup_id_z 0
		.amdhsa_system_sgpr_workgroup_info 0
		.amdhsa_system_vgpr_workitem_id 1
		.amdhsa_next_free_vgpr 12
		.amdhsa_next_free_sgpr 17
		.amdhsa_reserve_vcc 1
		.amdhsa_float_round_mode_32 0
		.amdhsa_float_round_mode_16_64 0
		.amdhsa_float_denorm_mode_32 3
		.amdhsa_float_denorm_mode_16_64 3
		.amdhsa_dx10_clamp 1
		.amdhsa_ieee_mode 1
		.amdhsa_fp16_overflow 0
		.amdhsa_workgroup_processor_mode 1
		.amdhsa_memory_ordered 1
		.amdhsa_forward_progress 0
		.amdhsa_shared_vgpr_count 0
		.amdhsa_exception_fp_ieee_invalid_op 0
		.amdhsa_exception_fp_denorm_src 0
		.amdhsa_exception_fp_ieee_div_zero 0
		.amdhsa_exception_fp_ieee_overflow 0
		.amdhsa_exception_fp_ieee_underflow 0
		.amdhsa_exception_fp_ieee_inexact 0
		.amdhsa_exception_int_div_zero 0
	.end_amdhsa_kernel
	.section	.text._ZN2at6native12_GLOBAL__N_131weight_norm_fwd_last_dim_kernelIN3c104HalfEfEEvPT_PT0_PKS5_SA_ii,"axG",@progbits,_ZN2at6native12_GLOBAL__N_131weight_norm_fwd_last_dim_kernelIN3c104HalfEfEEvPT_PT0_PKS5_SA_ii,comdat
.Lfunc_end7:
	.size	_ZN2at6native12_GLOBAL__N_131weight_norm_fwd_last_dim_kernelIN3c104HalfEfEEvPT_PT0_PKS5_SA_ii, .Lfunc_end7-_ZN2at6native12_GLOBAL__N_131weight_norm_fwd_last_dim_kernelIN3c104HalfEfEEvPT_PT0_PKS5_SA_ii
                                        ; -- End function
	.section	.AMDGPU.csdata,"",@progbits
; Kernel info:
; codeLenInByte = 1116
; NumSgprs: 19
; NumVgprs: 12
; ScratchSize: 0
; MemoryBound: 0
; FloatMode: 240
; IeeeMode: 1
; LDSByteSize: 0 bytes/workgroup (compile time only)
; SGPRBlocks: 2
; VGPRBlocks: 1
; NumSGPRsForWavesPerEU: 19
; NumVGPRsForWavesPerEU: 12
; Occupancy: 16
; WaveLimiterHint : 0
; COMPUTE_PGM_RSRC2:SCRATCH_EN: 0
; COMPUTE_PGM_RSRC2:USER_SGPR: 15
; COMPUTE_PGM_RSRC2:TRAP_HANDLER: 0
; COMPUTE_PGM_RSRC2:TGID_X_EN: 1
; COMPUTE_PGM_RSRC2:TGID_Y_EN: 0
; COMPUTE_PGM_RSRC2:TGID_Z_EN: 0
; COMPUTE_PGM_RSRC2:TIDIG_COMP_CNT: 1
	.section	.text._ZN2at6native12_GLOBAL__N_132weight_norm_bwd_first_dim_kernelIddEEvPT_S4_PKS3_S6_S6_PKT0_i,"axG",@progbits,_ZN2at6native12_GLOBAL__N_132weight_norm_bwd_first_dim_kernelIddEEvPT_S4_PKS3_S6_S6_PKT0_i,comdat
	.globl	_ZN2at6native12_GLOBAL__N_132weight_norm_bwd_first_dim_kernelIddEEvPT_S4_PKS3_S6_S6_PKT0_i ; -- Begin function _ZN2at6native12_GLOBAL__N_132weight_norm_bwd_first_dim_kernelIddEEvPT_S4_PKS3_S6_S6_PKT0_i
	.p2align	8
	.type	_ZN2at6native12_GLOBAL__N_132weight_norm_bwd_first_dim_kernelIddEEvPT_S4_PKS3_S6_S6_PKT0_i,@function
_ZN2at6native12_GLOBAL__N_132weight_norm_bwd_first_dim_kernelIddEEvPT_S4_PKS3_S6_S6_PKT0_i: ; @_ZN2at6native12_GLOBAL__N_132weight_norm_bwd_first_dim_kernelIddEEvPT_S4_PKS3_S6_S6_PKT0_i
; %bb.0:
	s_mov_b32 s16, s15
	s_clause 0x3
	s_load_b32 s20, s[0:1], 0x30
	s_load_b32 s3, s[0:1], 0x44
	s_load_b128 s[12:15], s[0:1], 0x20
	s_load_b256 s[4:11], s[0:1], 0x0
	v_and_b32_e32 v9, 0x3ff, v0
	v_mov_b32_e32 v3, 0
	v_mov_b32_e32 v4, 0
	s_add_u32 s18, s0, 56
	s_addc_u32 s19, s1, 0
	s_waitcnt lgkmcnt(0)
	s_mul_i32 s2, s16, s20
	s_and_b32 s21, s3, 0xffff
	v_add_nc_u32_e32 v1, s2, v9
	v_cmp_gt_i32_e64 s2, s20, v9
	s_delay_alu instid0(VALU_DEP_2) | instskip(NEXT) | instid1(VALU_DEP_2)
	v_ashrrev_i32_e32 v2, 31, v1
	s_and_saveexec_b32 s1, s2
	s_cbranch_execz .LBB8_4
; %bb.1:
	s_delay_alu instid0(VALU_DEP_1)
	v_lshlrev_b64 v[5:6], 3, v[1:2]
	v_mov_b32_e32 v3, 0
	v_dual_mov_b32 v4, 0 :: v_dual_mov_b32 v7, v9
	s_lshl_b32 s17, s21, 3
	s_mov_b32 s3, 0
	.p2align	6
.LBB8_2:                                ; =>This Inner Loop Header: Depth=1
	s_delay_alu instid0(VALU_DEP_3)
	v_add_co_u32 v10, vcc_lo, s8, v5
	v_add_co_ci_u32_e32 v11, vcc_lo, s9, v6, vcc_lo
	v_add_co_u32 v12, vcc_lo, s10, v5
	v_add_co_ci_u32_e32 v13, vcc_lo, s11, v6, vcc_lo
	v_add_nc_u32_e32 v7, s21, v7
	global_load_b64 v[10:11], v[10:11], off
	global_load_b64 v[12:13], v[12:13], off
	v_add_co_u32 v5, s0, v5, s17
	v_cmp_le_i32_e32 vcc_lo, s20, v7
	v_add_co_ci_u32_e64 v6, s0, 0, v6, s0
	s_or_b32 s3, vcc_lo, s3
	s_waitcnt vmcnt(0)
	v_fma_f64 v[3:4], v[10:11], v[12:13], v[3:4]
	s_and_not1_b32 exec_lo, exec_lo, s3
	s_cbranch_execnz .LBB8_2
; %bb.3:
	s_or_b32 exec_lo, exec_lo, s3
.LBB8_4:
	s_delay_alu instid0(SALU_CYCLE_1) | instskip(SKIP_2) | instid1(VALU_DEP_1)
	s_or_b32 exec_lo, exec_lo, s1
	s_load_b32 s0, s[18:19], 0xc
	v_bfe_u32 v0, v0, 10, 10
	v_mad_u32_u24 v0, v0, s21, v9
	s_waitcnt lgkmcnt(0)
	s_lshr_b32 s0, s0, 16
	s_delay_alu instid0(SALU_CYCLE_1) | instskip(NEXT) | instid1(SALU_CYCLE_1)
	s_mul_i32 s0, s0, s21
	s_cmp_gt_i32 s0, 63
	s_cselect_b32 s1, -1, 0
	s_cmp_lt_i32 s0, 64
	s_cbranch_scc1 .LBB8_6
; %bb.5:
	v_lshl_add_u32 v5, v0, 3, 0
	ds_store_b64 v5, v[3:4]
	s_waitcnt lgkmcnt(0)
	s_barrier
	buffer_gl0_inv
.LBB8_6:
	s_ashr_i32 s0, s0, 1
	s_delay_alu instid0(SALU_CYCLE_1)
	s_cmp_lt_i32 s0, 64
	s_cbranch_scc1 .LBB8_11
; %bb.7:
	v_lshl_add_u32 v5, v0, 3, 0
	s_branch .LBB8_9
	.p2align	6
.LBB8_8:                                ;   in Loop: Header=BB8_9 Depth=1
	s_or_b32 exec_lo, exec_lo, s3
	s_lshr_b32 s3, s0, 1
	s_cmpk_lt_u32 s0, 0x80
	s_mov_b32 s0, s3
	s_waitcnt lgkmcnt(0)
	s_barrier
	buffer_gl0_inv
	s_cbranch_scc1 .LBB8_11
.LBB8_9:                                ; =>This Inner Loop Header: Depth=1
	s_mov_b32 s3, exec_lo
	v_cmpx_gt_i32_e64 s0, v0
	s_cbranch_execz .LBB8_8
; %bb.10:                               ;   in Loop: Header=BB8_9 Depth=1
	v_lshl_add_u32 v8, s0, 3, v5
	ds_load_b64 v[6:7], v5
	ds_load_b64 v[10:11], v8
	s_waitcnt lgkmcnt(0)
	v_add_f64 v[6:7], v[6:7], v[10:11]
	ds_store_b64 v5, v[6:7]
	s_branch .LBB8_8
.LBB8_11:
	s_mov_b32 s0, exec_lo
	v_cmpx_gt_u32_e32 32, v0
	s_cbranch_execz .LBB8_16
; %bb.12:
	s_and_not1_b32 vcc_lo, exec_lo, s1
	s_cbranch_vccnz .LBB8_14
; %bb.13:
	v_lshl_add_u32 v3, v0, 3, 0
	ds_load_2addr_b64 v[3:6], v3 offset1:32
	s_waitcnt lgkmcnt(0)
	v_add_f64 v[3:4], v[3:4], v[5:6]
.LBB8_14:
	v_mbcnt_lo_u32_b32 v7, -1, 0
	s_delay_alu instid0(VALU_DEP_1) | instskip(SKIP_2) | instid1(VALU_DEP_2)
	v_cmp_gt_u32_e32 vcc_lo, 16, v7
	v_cndmask_b32_e64 v5, 0, 1, vcc_lo
	v_cmp_gt_u32_e32 vcc_lo, 24, v7
	v_lshlrev_b32_e32 v5, 4, v5
	s_delay_alu instid0(VALU_DEP_1)
	v_add_lshl_u32 v6, v5, v7, 2
	ds_bpermute_b32 v5, v6, v3
	ds_bpermute_b32 v6, v6, v4
	s_waitcnt lgkmcnt(0)
	v_add_f64 v[3:4], v[3:4], v[5:6]
	v_cndmask_b32_e64 v5, 0, 1, vcc_lo
	v_cmp_gt_u32_e32 vcc_lo, 28, v7
	s_delay_alu instid0(VALU_DEP_2) | instskip(NEXT) | instid1(VALU_DEP_1)
	v_lshlrev_b32_e32 v5, 3, v5
	v_add_lshl_u32 v6, v5, v7, 2
	ds_bpermute_b32 v5, v6, v3
	ds_bpermute_b32 v6, v6, v4
	s_waitcnt lgkmcnt(0)
	v_add_f64 v[3:4], v[3:4], v[5:6]
	v_cndmask_b32_e64 v5, 0, 1, vcc_lo
	v_cmp_gt_u32_e32 vcc_lo, 30, v7
	s_delay_alu instid0(VALU_DEP_2) | instskip(NEXT) | instid1(VALU_DEP_1)
	v_lshlrev_b32_e32 v5, 2, v5
	v_add_lshl_u32 v6, v5, v7, 2
	ds_bpermute_b32 v5, v6, v3
	ds_bpermute_b32 v6, v6, v4
	s_waitcnt lgkmcnt(0)
	v_add_f64 v[3:4], v[3:4], v[5:6]
	v_cndmask_b32_e64 v5, 0, 1, vcc_lo
	v_cmp_ne_u32_e32 vcc_lo, 31, v7
	s_delay_alu instid0(VALU_DEP_2) | instskip(NEXT) | instid1(VALU_DEP_1)
	v_lshlrev_b32_e32 v5, 1, v5
	v_add_lshl_u32 v6, v5, v7, 2
	ds_bpermute_b32 v5, v6, v3
	ds_bpermute_b32 v6, v6, v4
	s_waitcnt lgkmcnt(0)
	v_add_f64 v[3:4], v[3:4], v[5:6]
	v_add_co_ci_u32_e32 v5, vcc_lo, 0, v7, vcc_lo
	v_cmp_eq_u32_e32 vcc_lo, 0, v0
	s_delay_alu instid0(VALU_DEP_2)
	v_lshlrev_b32_e32 v6, 2, v5
	ds_bpermute_b32 v5, v6, v3
	ds_bpermute_b32 v6, v6, v4
	s_and_b32 exec_lo, exec_lo, vcc_lo
	s_cbranch_execz .LBB8_16
; %bb.15:
	s_waitcnt lgkmcnt(0)
	v_add_f64 v[3:4], v[3:4], v[5:6]
	v_mov_b32_e32 v0, 0
	ds_store_b64 v0, v[3:4]
.LBB8_16:
	s_or_b32 exec_lo, exec_lo, s0
	s_ashr_i32 s17, s16, 31
	s_waitcnt lgkmcnt(0)
	s_lshl_b64 s[0:1], s[16:17], 3
	s_barrier
	s_add_u32 s14, s14, s0
	s_addc_u32 s15, s15, s1
	buffer_gl0_inv
	s_load_b64 s[14:15], s[14:15], 0x0
	v_mov_b32_e32 v0, 0
	s_mov_b32 s3, exec_lo
	s_waitcnt lgkmcnt(0)
	v_div_scale_f64 v[3:4], null, s[14:15], s[14:15], 1.0
	s_delay_alu instid0(VALU_DEP_1) | instskip(SKIP_2) | instid1(VALU_DEP_1)
	v_rcp_f64_e32 v[5:6], v[3:4]
	s_waitcnt_depctr 0xfff
	v_fma_f64 v[7:8], -v[3:4], v[5:6], 1.0
	v_fma_f64 v[5:6], v[5:6], v[7:8], v[5:6]
	s_delay_alu instid0(VALU_DEP_1) | instskip(NEXT) | instid1(VALU_DEP_1)
	v_fma_f64 v[7:8], -v[3:4], v[5:6], 1.0
	v_fma_f64 v[5:6], v[5:6], v[7:8], v[5:6]
	v_div_scale_f64 v[7:8], vcc_lo, 1.0, s[14:15], 1.0
	s_delay_alu instid0(VALU_DEP_1) | instskip(NEXT) | instid1(VALU_DEP_1)
	v_mul_f64 v[10:11], v[7:8], v[5:6]
	v_fma_f64 v[3:4], -v[3:4], v[10:11], v[7:8]
	s_delay_alu instid0(VALU_DEP_1)
	v_div_fmas_f64 v[3:4], v[3:4], v[5:6], v[10:11]
	ds_load_b64 v[5:6], v0
	v_div_fixup_f64 v[3:4], v[3:4], s[14:15], 1.0
	v_cmpx_eq_u32_e32 0, v9
	s_cbranch_execz .LBB8_18
; %bb.17:
	s_waitcnt lgkmcnt(0)
	s_delay_alu instid0(VALU_DEP_2)
	v_mul_f64 v[7:8], v[5:6], v[3:4]
	s_add_u32 s6, s6, s0
	s_addc_u32 s7, s7, s1
	global_store_b64 v0, v[7:8], s[6:7]
.LBB8_18:
	s_or_b32 exec_lo, exec_lo, s3
	s_and_saveexec_b32 s3, s2
	s_cbranch_execz .LBB8_21
; %bb.19:
	s_delay_alu instid0(VALU_DEP_2)
	v_mul_f64 v[7:8], v[3:4], v[3:4]
	s_add_u32 s0, s12, s0
	s_addc_u32 s1, s13, s1
	v_lshlrev_b64 v[0:1], 3, v[1:2]
	s_load_b64 s[2:3], s[0:1], 0x0
	s_lshl_b32 s1, s21, 3
	s_mov_b32 s6, 0
	s_delay_alu instid0(VALU_DEP_2)
	v_mul_f64 v[7:8], v[3:4], v[7:8]
	.p2align	6
.LBB8_20:                               ; =>This Inner Loop Header: Depth=1
	s_delay_alu instid0(VALU_DEP_2)
	v_add_co_u32 v10, vcc_lo, s10, v0
	v_add_co_ci_u32_e32 v11, vcc_lo, s11, v1, vcc_lo
	v_add_co_u32 v12, vcc_lo, s8, v0
	v_add_co_ci_u32_e32 v13, vcc_lo, s9, v1, vcc_lo
	global_load_b64 v[10:11], v[10:11], off
	v_add_nc_u32_e32 v9, s21, v9
	global_load_b64 v[12:13], v[12:13], off
	s_waitcnt vmcnt(1)
	v_mul_f64 v[10:11], v[7:8], v[10:11]
	s_waitcnt lgkmcnt(0)
	s_delay_alu instid0(VALU_DEP_1) | instskip(SKIP_1) | instid1(VALU_DEP_1)
	v_mul_f64 v[10:11], v[5:6], v[10:11]
	s_waitcnt vmcnt(0)
	v_fma_f64 v[10:11], v[3:4], v[12:13], -v[10:11]
	v_add_co_u32 v12, vcc_lo, s4, v0
	v_add_co_ci_u32_e32 v13, vcc_lo, s5, v1, vcc_lo
	v_cmp_le_i32_e32 vcc_lo, s20, v9
	v_add_co_u32 v0, s0, v0, s1
	s_delay_alu instid0(VALU_DEP_1)
	v_add_co_ci_u32_e64 v1, s0, 0, v1, s0
	s_or_b32 s6, vcc_lo, s6
	v_mul_f64 v[10:11], s[2:3], v[10:11]
	global_store_b64 v[12:13], v[10:11], off
	s_and_not1_b32 exec_lo, exec_lo, s6
	s_cbranch_execnz .LBB8_20
.LBB8_21:
	s_nop 0
	s_sendmsg sendmsg(MSG_DEALLOC_VGPRS)
	s_endpgm
	.section	.rodata,"a",@progbits
	.p2align	6, 0x0
	.amdhsa_kernel _ZN2at6native12_GLOBAL__N_132weight_norm_bwd_first_dim_kernelIddEEvPT_S4_PKS3_S6_S6_PKT0_i
		.amdhsa_group_segment_fixed_size 0
		.amdhsa_private_segment_fixed_size 0
		.amdhsa_kernarg_size 312
		.amdhsa_user_sgpr_count 15
		.amdhsa_user_sgpr_dispatch_ptr 0
		.amdhsa_user_sgpr_queue_ptr 0
		.amdhsa_user_sgpr_kernarg_segment_ptr 1
		.amdhsa_user_sgpr_dispatch_id 0
		.amdhsa_user_sgpr_private_segment_size 0
		.amdhsa_wavefront_size32 1
		.amdhsa_uses_dynamic_stack 0
		.amdhsa_enable_private_segment 0
		.amdhsa_system_sgpr_workgroup_id_x 1
		.amdhsa_system_sgpr_workgroup_id_y 0
		.amdhsa_system_sgpr_workgroup_id_z 0
		.amdhsa_system_sgpr_workgroup_info 0
		.amdhsa_system_vgpr_workitem_id 1
		.amdhsa_next_free_vgpr 14
		.amdhsa_next_free_sgpr 22
		.amdhsa_reserve_vcc 1
		.amdhsa_float_round_mode_32 0
		.amdhsa_float_round_mode_16_64 0
		.amdhsa_float_denorm_mode_32 3
		.amdhsa_float_denorm_mode_16_64 3
		.amdhsa_dx10_clamp 1
		.amdhsa_ieee_mode 1
		.amdhsa_fp16_overflow 0
		.amdhsa_workgroup_processor_mode 1
		.amdhsa_memory_ordered 1
		.amdhsa_forward_progress 0
		.amdhsa_shared_vgpr_count 0
		.amdhsa_exception_fp_ieee_invalid_op 0
		.amdhsa_exception_fp_denorm_src 0
		.amdhsa_exception_fp_ieee_div_zero 0
		.amdhsa_exception_fp_ieee_overflow 0
		.amdhsa_exception_fp_ieee_underflow 0
		.amdhsa_exception_fp_ieee_inexact 0
		.amdhsa_exception_int_div_zero 0
	.end_amdhsa_kernel
	.section	.text._ZN2at6native12_GLOBAL__N_132weight_norm_bwd_first_dim_kernelIddEEvPT_S4_PKS3_S6_S6_PKT0_i,"axG",@progbits,_ZN2at6native12_GLOBAL__N_132weight_norm_bwd_first_dim_kernelIddEEvPT_S4_PKS3_S6_S6_PKT0_i,comdat
.Lfunc_end8:
	.size	_ZN2at6native12_GLOBAL__N_132weight_norm_bwd_first_dim_kernelIddEEvPT_S4_PKS3_S6_S6_PKT0_i, .Lfunc_end8-_ZN2at6native12_GLOBAL__N_132weight_norm_bwd_first_dim_kernelIddEEvPT_S4_PKS3_S6_S6_PKT0_i
                                        ; -- End function
	.section	.AMDGPU.csdata,"",@progbits
; Kernel info:
; codeLenInByte = 1252
; NumSgprs: 24
; NumVgprs: 14
; ScratchSize: 0
; MemoryBound: 0
; FloatMode: 240
; IeeeMode: 1
; LDSByteSize: 0 bytes/workgroup (compile time only)
; SGPRBlocks: 2
; VGPRBlocks: 1
; NumSGPRsForWavesPerEU: 24
; NumVGPRsForWavesPerEU: 14
; Occupancy: 16
; WaveLimiterHint : 0
; COMPUTE_PGM_RSRC2:SCRATCH_EN: 0
; COMPUTE_PGM_RSRC2:USER_SGPR: 15
; COMPUTE_PGM_RSRC2:TRAP_HANDLER: 0
; COMPUTE_PGM_RSRC2:TGID_X_EN: 1
; COMPUTE_PGM_RSRC2:TGID_Y_EN: 0
; COMPUTE_PGM_RSRC2:TGID_Z_EN: 0
; COMPUTE_PGM_RSRC2:TIDIG_COMP_CNT: 1
	.section	.text._ZN2at6native12_GLOBAL__N_132weight_norm_bwd_first_dim_kernelIffEEvPT_S4_PKS3_S6_S6_PKT0_i,"axG",@progbits,_ZN2at6native12_GLOBAL__N_132weight_norm_bwd_first_dim_kernelIffEEvPT_S4_PKS3_S6_S6_PKT0_i,comdat
	.globl	_ZN2at6native12_GLOBAL__N_132weight_norm_bwd_first_dim_kernelIffEEvPT_S4_PKS3_S6_S6_PKT0_i ; -- Begin function _ZN2at6native12_GLOBAL__N_132weight_norm_bwd_first_dim_kernelIffEEvPT_S4_PKS3_S6_S6_PKT0_i
	.p2align	8
	.type	_ZN2at6native12_GLOBAL__N_132weight_norm_bwd_first_dim_kernelIffEEvPT_S4_PKS3_S6_S6_PKT0_i,@function
_ZN2at6native12_GLOBAL__N_132weight_norm_bwd_first_dim_kernelIffEEvPT_S4_PKS3_S6_S6_PKT0_i: ; @_ZN2at6native12_GLOBAL__N_132weight_norm_bwd_first_dim_kernelIffEEvPT_S4_PKS3_S6_S6_PKT0_i
; %bb.0:
	s_mov_b32 s16, s15
	s_clause 0x3
	s_load_b32 s3, s[0:1], 0x30
	s_load_b32 s17, s[0:1], 0x44
	s_load_b128 s[12:15], s[0:1], 0x20
	s_load_b256 s[4:11], s[0:1], 0x0
	v_dual_mov_b32 v6, 0 :: v_dual_and_b32 v5, 0x3ff, v0
	s_add_u32 s18, s0, 56
	s_addc_u32 s19, s1, 0
	s_waitcnt lgkmcnt(0)
	s_mul_i32 s2, s16, s3
	s_and_b32 s20, s17, 0xffff
	v_add_nc_u32_e32 v1, s2, v5
	v_cmp_gt_i32_e64 s2, s3, v5
	s_delay_alu instid0(VALU_DEP_2) | instskip(NEXT) | instid1(VALU_DEP_2)
	v_ashrrev_i32_e32 v2, 31, v1
	s_and_saveexec_b32 s1, s2
	s_cbranch_execz .LBB9_4
; %bb.1:
	s_delay_alu instid0(VALU_DEP_1)
	v_lshlrev_b64 v[3:4], 2, v[1:2]
	v_dual_mov_b32 v6, 0 :: v_dual_mov_b32 v7, v5
	s_lshl_b32 s21, s20, 2
	s_mov_b32 s17, 0
	.p2align	6
.LBB9_2:                                ; =>This Inner Loop Header: Depth=1
	s_delay_alu instid0(VALU_DEP_2) | instskip(NEXT) | instid1(VALU_DEP_3)
	v_add_co_u32 v8, vcc_lo, s8, v3
	v_add_co_ci_u32_e32 v9, vcc_lo, s9, v4, vcc_lo
	v_add_co_u32 v10, vcc_lo, s10, v3
	v_add_co_ci_u32_e32 v11, vcc_lo, s11, v4, vcc_lo
	v_add_co_u32 v3, vcc_lo, v3, s21
	global_load_b32 v8, v[8:9], off
	global_load_b32 v9, v[10:11], off
	v_add_nc_u32_e32 v7, s20, v7
	v_add_co_ci_u32_e32 v4, vcc_lo, 0, v4, vcc_lo
	s_waitcnt vmcnt(0)
	v_fmac_f32_e32 v6, v8, v9
	s_delay_alu instid0(VALU_DEP_3) | instskip(NEXT) | instid1(VALU_DEP_1)
	v_cmp_le_i32_e64 s0, s3, v7
	s_or_b32 s17, s0, s17
	s_delay_alu instid0(SALU_CYCLE_1)
	s_and_not1_b32 exec_lo, exec_lo, s17
	s_cbranch_execnz .LBB9_2
; %bb.3:
	s_or_b32 exec_lo, exec_lo, s17
.LBB9_4:
	s_delay_alu instid0(SALU_CYCLE_1) | instskip(SKIP_2) | instid1(VALU_DEP_1)
	s_or_b32 exec_lo, exec_lo, s1
	s_load_b32 s0, s[18:19], 0xc
	v_bfe_u32 v0, v0, 10, 10
	v_mad_u32_u24 v0, v0, s20, v5
	s_waitcnt lgkmcnt(0)
	s_lshr_b32 s0, s0, 16
	s_delay_alu instid0(SALU_CYCLE_1) | instskip(NEXT) | instid1(SALU_CYCLE_1)
	s_mul_i32 s0, s0, s20
	s_cmp_gt_i32 s0, 63
	s_cselect_b32 s1, -1, 0
	s_cmp_lt_i32 s0, 64
	s_cbranch_scc1 .LBB9_6
; %bb.5:
	v_lshl_add_u32 v3, v0, 2, 0
	ds_store_b32 v3, v6
	s_waitcnt lgkmcnt(0)
	s_barrier
	buffer_gl0_inv
.LBB9_6:
	s_ashr_i32 s0, s0, 1
	s_delay_alu instid0(SALU_CYCLE_1)
	s_cmp_lt_i32 s0, 64
	s_cbranch_scc1 .LBB9_11
; %bb.7:
	v_lshl_add_u32 v3, v0, 2, 0
	s_branch .LBB9_9
	.p2align	6
.LBB9_8:                                ;   in Loop: Header=BB9_9 Depth=1
	s_or_b32 exec_lo, exec_lo, s17
	s_lshr_b32 s17, s0, 1
	s_cmpk_lt_u32 s0, 0x80
	s_mov_b32 s0, s17
	s_waitcnt lgkmcnt(0)
	s_barrier
	buffer_gl0_inv
	s_cbranch_scc1 .LBB9_11
.LBB9_9:                                ; =>This Inner Loop Header: Depth=1
	s_mov_b32 s17, exec_lo
	v_cmpx_gt_i32_e64 s0, v0
	s_cbranch_execz .LBB9_8
; %bb.10:                               ;   in Loop: Header=BB9_9 Depth=1
	v_lshl_add_u32 v4, s0, 2, v3
	ds_load_b32 v7, v3
	ds_load_b32 v4, v4
	s_waitcnt lgkmcnt(0)
	v_add_f32_e32 v4, v7, v4
	ds_store_b32 v3, v4
	s_branch .LBB9_8
.LBB9_11:
	s_mov_b32 s0, exec_lo
	v_cmpx_gt_u32_e32 32, v0
	s_cbranch_execz .LBB9_16
; %bb.12:
	s_and_not1_b32 vcc_lo, exec_lo, s1
	s_cbranch_vccnz .LBB9_14
; %bb.13:
	v_lshl_add_u32 v3, v0, 2, 0
	ds_load_2addr_b32 v[3:4], v3 offset1:32
	s_waitcnt lgkmcnt(0)
	v_add_f32_e32 v6, v3, v4
.LBB9_14:
	v_mbcnt_lo_u32_b32 v3, -1, 0
	s_delay_alu instid0(VALU_DEP_1) | instskip(SKIP_2) | instid1(VALU_DEP_2)
	v_cmp_gt_u32_e32 vcc_lo, 16, v3
	v_cndmask_b32_e64 v4, 0, 1, vcc_lo
	v_cmp_gt_u32_e32 vcc_lo, 24, v3
	v_lshlrev_b32_e32 v4, 4, v4
	v_cndmask_b32_e64 v7, 0, 1, vcc_lo
	v_cmp_gt_u32_e32 vcc_lo, 28, v3
	s_delay_alu instid0(VALU_DEP_3) | instskip(SKIP_3) | instid1(VALU_DEP_1)
	v_add_lshl_u32 v4, v4, v3, 2
	ds_bpermute_b32 v4, v4, v6
	s_waitcnt lgkmcnt(0)
	v_dual_add_f32 v4, v6, v4 :: v_dual_lshlrev_b32 v7, 3, v7
	v_add_lshl_u32 v7, v7, v3, 2
	ds_bpermute_b32 v6, v7, v4
	v_cndmask_b32_e64 v7, 0, 1, vcc_lo
	v_cmp_gt_u32_e32 vcc_lo, 30, v3
	s_waitcnt lgkmcnt(0)
	s_delay_alu instid0(VALU_DEP_2) | instskip(NEXT) | instid1(VALU_DEP_1)
	v_dual_add_f32 v4, v4, v6 :: v_dual_lshlrev_b32 v7, 2, v7
	v_add_lshl_u32 v7, v7, v3, 2
	ds_bpermute_b32 v6, v7, v4
	v_cndmask_b32_e64 v7, 0, 1, vcc_lo
	v_cmp_ne_u32_e32 vcc_lo, 31, v3
	s_waitcnt lgkmcnt(0)
	s_delay_alu instid0(VALU_DEP_2) | instskip(NEXT) | instid1(VALU_DEP_1)
	v_dual_add_f32 v4, v4, v6 :: v_dual_lshlrev_b32 v7, 1, v7
	v_add_lshl_u32 v7, v7, v3, 2
	ds_bpermute_b32 v6, v7, v4
	v_add_co_ci_u32_e32 v7, vcc_lo, 0, v3, vcc_lo
	v_cmp_eq_u32_e32 vcc_lo, 0, v0
	s_waitcnt lgkmcnt(0)
	s_delay_alu instid0(VALU_DEP_2)
	v_dual_add_f32 v3, v4, v6 :: v_dual_lshlrev_b32 v4, 2, v7
	ds_bpermute_b32 v4, v4, v3
	s_and_b32 exec_lo, exec_lo, vcc_lo
	s_cbranch_execz .LBB9_16
; %bb.15:
	s_waitcnt lgkmcnt(0)
	v_dual_add_f32 v0, v3, v4 :: v_dual_mov_b32 v3, 0
	ds_store_b32 v3, v0
.LBB9_16:
	s_or_b32 exec_lo, exec_lo, s0
	s_ashr_i32 s17, s16, 31
	s_waitcnt lgkmcnt(0)
	s_lshl_b64 s[0:1], s[16:17], 2
	s_barrier
	s_add_u32 s14, s14, s0
	s_addc_u32 s15, s15, s1
	buffer_gl0_inv
	s_load_b32 s14, s[14:15], 0x0
	s_waitcnt lgkmcnt(0)
	v_div_scale_f32 v4, null, s14, s14, 1.0
	v_div_scale_f32 v7, vcc_lo, 1.0, s14, 1.0
	s_delay_alu instid0(VALU_DEP_2) | instskip(SKIP_2) | instid1(VALU_DEP_1)
	v_rcp_f32_e32 v6, v4
	s_waitcnt_depctr 0xfff
	v_fma_f32 v0, -v4, v6, 1.0
	v_fmac_f32_e32 v6, v0, v6
	v_mov_b32_e32 v0, 0
	s_delay_alu instid0(VALU_DEP_2) | instskip(NEXT) | instid1(VALU_DEP_1)
	v_mul_f32_e32 v8, v7, v6
	v_fma_f32 v3, -v4, v8, v7
	s_delay_alu instid0(VALU_DEP_1) | instskip(SKIP_2) | instid1(VALU_DEP_1)
	v_fmac_f32_e32 v8, v3, v6
	ds_load_b32 v3, v0
	v_fma_f32 v4, -v4, v8, v7
	v_div_fmas_f32 v4, v4, v6, v8
	s_delay_alu instid0(VALU_DEP_1)
	v_div_fixup_f32 v4, v4, s14, 1.0
	s_mov_b32 s14, exec_lo
	v_cmpx_eq_u32_e32 0, v5
	s_cbranch_execz .LBB9_18
; %bb.17:
	s_waitcnt lgkmcnt(0)
	v_mul_f32_e32 v6, v3, v4
	s_add_u32 s6, s6, s0
	s_addc_u32 s7, s7, s1
	global_store_b32 v0, v6, s[6:7]
.LBB9_18:
	s_or_b32 exec_lo, exec_lo, s14
	s_and_saveexec_b32 s6, s2
	s_cbranch_execz .LBB9_21
; %bb.19:
	s_add_u32 s0, s12, s0
	s_addc_u32 s1, s13, s1
	v_mul_f32_e32 v6, v4, v4
	s_load_b32 s1, s[0:1], 0x0
	v_lshlrev_b64 v[0:1], 2, v[1:2]
	s_lshl_b32 s2, s20, 2
	s_mov_b32 s6, 0
	v_mul_f32_e32 v2, v4, v6
	.p2align	6
.LBB9_20:                               ; =>This Inner Loop Header: Depth=1
	s_delay_alu instid0(VALU_DEP_2) | instskip(NEXT) | instid1(VALU_DEP_3)
	v_add_co_u32 v6, vcc_lo, s10, v0
	v_add_co_ci_u32_e32 v7, vcc_lo, s11, v1, vcc_lo
	v_add_nc_u32_e32 v5, s20, v5
	global_load_b32 v8, v[6:7], off
	v_add_co_u32 v6, vcc_lo, s8, v0
	v_add_co_ci_u32_e32 v7, vcc_lo, s9, v1, vcc_lo
	v_cmp_le_i32_e64 s0, s3, v5
	global_load_b32 v9, v[6:7], off
	v_add_co_u32 v6, vcc_lo, s4, v0
	s_or_b32 s6, s0, s6
	s_waitcnt vmcnt(1)
	v_mul_f32_e32 v7, v2, v8
	s_waitcnt lgkmcnt(0)
	s_delay_alu instid0(VALU_DEP_1) | instskip(SKIP_3) | instid1(VALU_DEP_3)
	v_mul_f32_e32 v8, v3, v7
	v_add_co_ci_u32_e32 v7, vcc_lo, s5, v1, vcc_lo
	v_add_co_u32 v0, vcc_lo, v0, s2
	s_waitcnt vmcnt(0)
	v_fma_f32 v8, v4, v9, -v8
	v_add_co_ci_u32_e32 v1, vcc_lo, 0, v1, vcc_lo
	s_delay_alu instid0(VALU_DEP_2)
	v_mul_f32_e32 v8, s1, v8
	global_store_b32 v[6:7], v8, off
	s_and_not1_b32 exec_lo, exec_lo, s6
	s_cbranch_execnz .LBB9_20
.LBB9_21:
	s_nop 0
	s_sendmsg sendmsg(MSG_DEALLOC_VGPRS)
	s_endpgm
	.section	.rodata,"a",@progbits
	.p2align	6, 0x0
	.amdhsa_kernel _ZN2at6native12_GLOBAL__N_132weight_norm_bwd_first_dim_kernelIffEEvPT_S4_PKS3_S6_S6_PKT0_i
		.amdhsa_group_segment_fixed_size 0
		.amdhsa_private_segment_fixed_size 0
		.amdhsa_kernarg_size 312
		.amdhsa_user_sgpr_count 15
		.amdhsa_user_sgpr_dispatch_ptr 0
		.amdhsa_user_sgpr_queue_ptr 0
		.amdhsa_user_sgpr_kernarg_segment_ptr 1
		.amdhsa_user_sgpr_dispatch_id 0
		.amdhsa_user_sgpr_private_segment_size 0
		.amdhsa_wavefront_size32 1
		.amdhsa_uses_dynamic_stack 0
		.amdhsa_enable_private_segment 0
		.amdhsa_system_sgpr_workgroup_id_x 1
		.amdhsa_system_sgpr_workgroup_id_y 0
		.amdhsa_system_sgpr_workgroup_id_z 0
		.amdhsa_system_sgpr_workgroup_info 0
		.amdhsa_system_vgpr_workitem_id 1
		.amdhsa_next_free_vgpr 12
		.amdhsa_next_free_sgpr 22
		.amdhsa_reserve_vcc 1
		.amdhsa_float_round_mode_32 0
		.amdhsa_float_round_mode_16_64 0
		.amdhsa_float_denorm_mode_32 3
		.amdhsa_float_denorm_mode_16_64 3
		.amdhsa_dx10_clamp 1
		.amdhsa_ieee_mode 1
		.amdhsa_fp16_overflow 0
		.amdhsa_workgroup_processor_mode 1
		.amdhsa_memory_ordered 1
		.amdhsa_forward_progress 0
		.amdhsa_shared_vgpr_count 0
		.amdhsa_exception_fp_ieee_invalid_op 0
		.amdhsa_exception_fp_denorm_src 0
		.amdhsa_exception_fp_ieee_div_zero 0
		.amdhsa_exception_fp_ieee_overflow 0
		.amdhsa_exception_fp_ieee_underflow 0
		.amdhsa_exception_fp_ieee_inexact 0
		.amdhsa_exception_int_div_zero 0
	.end_amdhsa_kernel
	.section	.text._ZN2at6native12_GLOBAL__N_132weight_norm_bwd_first_dim_kernelIffEEvPT_S4_PKS3_S6_S6_PKT0_i,"axG",@progbits,_ZN2at6native12_GLOBAL__N_132weight_norm_bwd_first_dim_kernelIffEEvPT_S4_PKS3_S6_S6_PKT0_i,comdat
.Lfunc_end9:
	.size	_ZN2at6native12_GLOBAL__N_132weight_norm_bwd_first_dim_kernelIffEEvPT_S4_PKS3_S6_S6_PKT0_i, .Lfunc_end9-_ZN2at6native12_GLOBAL__N_132weight_norm_bwd_first_dim_kernelIffEEvPT_S4_PKS3_S6_S6_PKT0_i
                                        ; -- End function
	.section	.AMDGPU.csdata,"",@progbits
; Kernel info:
; codeLenInByte = 1128
; NumSgprs: 24
; NumVgprs: 12
; ScratchSize: 0
; MemoryBound: 0
; FloatMode: 240
; IeeeMode: 1
; LDSByteSize: 0 bytes/workgroup (compile time only)
; SGPRBlocks: 2
; VGPRBlocks: 1
; NumSGPRsForWavesPerEU: 24
; NumVGPRsForWavesPerEU: 12
; Occupancy: 16
; WaveLimiterHint : 0
; COMPUTE_PGM_RSRC2:SCRATCH_EN: 0
; COMPUTE_PGM_RSRC2:USER_SGPR: 15
; COMPUTE_PGM_RSRC2:TRAP_HANDLER: 0
; COMPUTE_PGM_RSRC2:TGID_X_EN: 1
; COMPUTE_PGM_RSRC2:TGID_Y_EN: 0
; COMPUTE_PGM_RSRC2:TGID_Z_EN: 0
; COMPUTE_PGM_RSRC2:TIDIG_COMP_CNT: 1
	.section	.text._ZN2at6native12_GLOBAL__N_132weight_norm_bwd_first_dim_kernelIN3c108BFloat16EfEEvPT_S6_PKS5_S8_S8_PKT0_i,"axG",@progbits,_ZN2at6native12_GLOBAL__N_132weight_norm_bwd_first_dim_kernelIN3c108BFloat16EfEEvPT_S6_PKS5_S8_S8_PKT0_i,comdat
	.globl	_ZN2at6native12_GLOBAL__N_132weight_norm_bwd_first_dim_kernelIN3c108BFloat16EfEEvPT_S6_PKS5_S8_S8_PKT0_i ; -- Begin function _ZN2at6native12_GLOBAL__N_132weight_norm_bwd_first_dim_kernelIN3c108BFloat16EfEEvPT_S6_PKS5_S8_S8_PKT0_i
	.p2align	8
	.type	_ZN2at6native12_GLOBAL__N_132weight_norm_bwd_first_dim_kernelIN3c108BFloat16EfEEvPT_S6_PKS5_S8_S8_PKT0_i,@function
_ZN2at6native12_GLOBAL__N_132weight_norm_bwd_first_dim_kernelIN3c108BFloat16EfEEvPT_S6_PKS5_S8_S8_PKT0_i: ; @_ZN2at6native12_GLOBAL__N_132weight_norm_bwd_first_dim_kernelIN3c108BFloat16EfEEvPT_S6_PKS5_S8_S8_PKT0_i
; %bb.0:
	s_mov_b32 s2, s15
	s_clause 0x3
	s_load_b32 s18, s[0:1], 0x30
	s_load_b32 s3, s[0:1], 0x44
	s_load_b128 s[12:15], s[0:1], 0x20
	s_load_b256 s[4:11], s[0:1], 0x0
	v_dual_mov_b32 v4, 0 :: v_dual_and_b32 v3, 0x3ff, v0
	s_add_u32 s16, s0, 56
	s_addc_u32 s17, s1, 0
	s_waitcnt lgkmcnt(0)
	s_delay_alu instid0(VALU_DEP_1) | instskip(SKIP_2) | instid1(VALU_DEP_1)
	v_cmp_gt_i32_e64 s0, s18, v3
	s_and_b32 s19, s3, 0xffff
	s_mul_i32 s20, s2, s18
	s_and_saveexec_b32 s3, s0
	s_cbranch_execz .LBB10_4
; %bb.1:
	v_dual_mov_b32 v4, 0 :: v_dual_add_nc_u32 v1, s20, v3
	v_mov_b32_e32 v5, v3
	s_lshl_b32 s22, s19, 1
	s_mov_b32 s21, 0
	s_delay_alu instid0(VALU_DEP_2) | instskip(NEXT) | instid1(VALU_DEP_1)
	v_ashrrev_i32_e32 v2, 31, v1
	v_lshlrev_b64 v[1:2], 1, v[1:2]
	.p2align	6
.LBB10_2:                               ; =>This Inner Loop Header: Depth=1
	s_delay_alu instid0(VALU_DEP_1) | instskip(NEXT) | instid1(VALU_DEP_2)
	v_add_co_u32 v6, vcc_lo, s10, v1
	v_add_co_ci_u32_e32 v7, vcc_lo, s11, v2, vcc_lo
	v_add_co_u32 v8, vcc_lo, s8, v1
	v_add_co_ci_u32_e32 v9, vcc_lo, s9, v2, vcc_lo
	v_add_co_u32 v1, vcc_lo, v1, s22
	global_load_u16 v6, v[6:7], off
	global_load_u16 v7, v[8:9], off
	v_add_co_ci_u32_e32 v2, vcc_lo, 0, v2, vcc_lo
	s_waitcnt vmcnt(1)
	v_lshlrev_b32_e32 v6, 16, v6
	s_waitcnt vmcnt(0)
	v_lshlrev_b32_e32 v7, 16, v7
	s_delay_alu instid0(VALU_DEP_1) | instskip(NEXT) | instid1(VALU_DEP_1)
	v_dual_fmac_f32 v4, v7, v6 :: v_dual_add_nc_u32 v5, s19, v5
	v_cmp_le_i32_e64 s1, s18, v5
	s_delay_alu instid0(VALU_DEP_1) | instskip(NEXT) | instid1(SALU_CYCLE_1)
	s_or_b32 s21, s1, s21
	s_and_not1_b32 exec_lo, exec_lo, s21
	s_cbranch_execnz .LBB10_2
; %bb.3:
	s_or_b32 exec_lo, exec_lo, s21
.LBB10_4:
	s_delay_alu instid0(SALU_CYCLE_1) | instskip(SKIP_2) | instid1(VALU_DEP_1)
	s_or_b32 exec_lo, exec_lo, s3
	s_load_b32 s1, s[16:17], 0xc
	v_bfe_u32 v0, v0, 10, 10
	v_mad_u32_u24 v0, v0, s19, v3
	s_waitcnt lgkmcnt(0)
	s_lshr_b32 s1, s1, 16
	s_delay_alu instid0(SALU_CYCLE_1) | instskip(NEXT) | instid1(SALU_CYCLE_1)
	s_mul_i32 s1, s1, s19
	s_cmp_gt_i32 s1, 63
	s_cselect_b32 s3, -1, 0
	s_cmp_lt_i32 s1, 64
	s_cbranch_scc1 .LBB10_6
; %bb.5:
	v_lshl_add_u32 v1, v0, 2, 0
	ds_store_b32 v1, v4
	s_waitcnt lgkmcnt(0)
	s_barrier
	buffer_gl0_inv
.LBB10_6:
	s_ashr_i32 s1, s1, 1
	s_delay_alu instid0(SALU_CYCLE_1)
	s_cmp_lt_i32 s1, 64
	s_cbranch_scc1 .LBB10_11
; %bb.7:
	v_lshl_add_u32 v1, v0, 2, 0
	s_branch .LBB10_9
	.p2align	6
.LBB10_8:                               ;   in Loop: Header=BB10_9 Depth=1
	s_or_b32 exec_lo, exec_lo, s16
	s_lshr_b32 s16, s1, 1
	s_cmpk_lt_u32 s1, 0x80
	s_mov_b32 s1, s16
	s_waitcnt lgkmcnt(0)
	s_barrier
	buffer_gl0_inv
	s_cbranch_scc1 .LBB10_11
.LBB10_9:                               ; =>This Inner Loop Header: Depth=1
	s_mov_b32 s16, exec_lo
	v_cmpx_gt_i32_e64 s1, v0
	s_cbranch_execz .LBB10_8
; %bb.10:                               ;   in Loop: Header=BB10_9 Depth=1
	v_lshl_add_u32 v2, s1, 2, v1
	ds_load_b32 v5, v1
	ds_load_b32 v2, v2
	s_waitcnt lgkmcnt(0)
	v_add_f32_e32 v2, v5, v2
	ds_store_b32 v1, v2
	s_branch .LBB10_8
.LBB10_11:
	s_mov_b32 s1, exec_lo
	v_cmpx_gt_u32_e32 32, v0
	s_cbranch_execz .LBB10_16
; %bb.12:
	s_and_not1_b32 vcc_lo, exec_lo, s3
	s_cbranch_vccnz .LBB10_14
; %bb.13:
	v_lshl_add_u32 v1, v0, 2, 0
	ds_load_2addr_b32 v[1:2], v1 offset1:32
	s_waitcnt lgkmcnt(0)
	v_add_f32_e32 v4, v1, v2
.LBB10_14:
	v_mbcnt_lo_u32_b32 v1, -1, 0
	s_delay_alu instid0(VALU_DEP_1) | instskip(SKIP_2) | instid1(VALU_DEP_2)
	v_cmp_gt_u32_e32 vcc_lo, 16, v1
	v_cndmask_b32_e64 v2, 0, 1, vcc_lo
	v_cmp_gt_u32_e32 vcc_lo, 24, v1
	v_lshlrev_b32_e32 v2, 4, v2
	v_cndmask_b32_e64 v5, 0, 1, vcc_lo
	v_cmp_gt_u32_e32 vcc_lo, 28, v1
	s_delay_alu instid0(VALU_DEP_3) | instskip(SKIP_3) | instid1(VALU_DEP_1)
	v_add_lshl_u32 v2, v2, v1, 2
	ds_bpermute_b32 v2, v2, v4
	s_waitcnt lgkmcnt(0)
	v_dual_add_f32 v2, v4, v2 :: v_dual_lshlrev_b32 v5, 3, v5
	v_add_lshl_u32 v5, v5, v1, 2
	ds_bpermute_b32 v4, v5, v2
	v_cndmask_b32_e64 v5, 0, 1, vcc_lo
	v_cmp_gt_u32_e32 vcc_lo, 30, v1
	s_waitcnt lgkmcnt(0)
	s_delay_alu instid0(VALU_DEP_2) | instskip(NEXT) | instid1(VALU_DEP_1)
	v_dual_add_f32 v2, v2, v4 :: v_dual_lshlrev_b32 v5, 2, v5
	v_add_lshl_u32 v5, v5, v1, 2
	ds_bpermute_b32 v4, v5, v2
	v_cndmask_b32_e64 v5, 0, 1, vcc_lo
	v_cmp_ne_u32_e32 vcc_lo, 31, v1
	s_waitcnt lgkmcnt(0)
	s_delay_alu instid0(VALU_DEP_2) | instskip(NEXT) | instid1(VALU_DEP_1)
	v_dual_add_f32 v2, v2, v4 :: v_dual_lshlrev_b32 v5, 1, v5
	v_add_lshl_u32 v5, v5, v1, 2
	ds_bpermute_b32 v4, v5, v2
	v_add_co_ci_u32_e32 v5, vcc_lo, 0, v1, vcc_lo
	v_cmp_eq_u32_e32 vcc_lo, 0, v0
	s_waitcnt lgkmcnt(0)
	s_delay_alu instid0(VALU_DEP_2)
	v_dual_add_f32 v1, v2, v4 :: v_dual_lshlrev_b32 v2, 2, v5
	ds_bpermute_b32 v2, v2, v1
	s_and_b32 exec_lo, exec_lo, vcc_lo
	s_cbranch_execz .LBB10_16
; %bb.15:
	s_waitcnt lgkmcnt(0)
	v_dual_add_f32 v0, v1, v2 :: v_dual_mov_b32 v1, 0
	ds_store_b32 v1, v0
.LBB10_16:
	s_or_b32 exec_lo, exec_lo, s1
	s_ashr_i32 s3, s2, 31
	s_waitcnt lgkmcnt(0)
	s_lshl_b64 s[16:17], s[2:3], 2
	s_barrier
	s_add_u32 s14, s14, s16
	s_addc_u32 s15, s15, s17
	buffer_gl0_inv
	s_load_b32 s1, s[14:15], 0x0
	s_waitcnt lgkmcnt(0)
	v_div_scale_f32 v1, null, s1, s1, 1.0
	v_div_scale_f32 v5, vcc_lo, 1.0, s1, 1.0
	s_delay_alu instid0(VALU_DEP_2) | instskip(SKIP_2) | instid1(VALU_DEP_1)
	v_rcp_f32_e32 v4, v1
	s_waitcnt_depctr 0xfff
	v_fma_f32 v0, -v1, v4, 1.0
	v_fmac_f32_e32 v4, v0, v4
	v_mov_b32_e32 v0, 0
	s_delay_alu instid0(VALU_DEP_2) | instskip(NEXT) | instid1(VALU_DEP_1)
	v_mul_f32_e32 v6, v5, v4
	v_fma_f32 v2, -v1, v6, v5
	s_delay_alu instid0(VALU_DEP_1) | instskip(SKIP_2) | instid1(VALU_DEP_1)
	v_fmac_f32_e32 v6, v2, v4
	ds_load_b32 v2, v0
	v_fma_f32 v1, -v1, v6, v5
	v_div_fmas_f32 v1, v1, v4, v6
	s_delay_alu instid0(VALU_DEP_1)
	v_div_fixup_f32 v4, v1, s1, 1.0
	s_mov_b32 s1, exec_lo
	v_cmpx_eq_u32_e32 0, v3
	s_cbranch_execz .LBB10_18
; %bb.17:
	s_waitcnt lgkmcnt(0)
	v_mul_f32_e32 v1, v2, v4
	s_lshl_b64 s[14:15], s[2:3], 1
	s_delay_alu instid0(SALU_CYCLE_1) | instskip(SKIP_1) | instid1(VALU_DEP_1)
	s_add_u32 s6, s6, s14
	s_addc_u32 s7, s7, s15
	v_bfe_u32 v5, v1, 16, 1
	v_cmp_o_f32_e32 vcc_lo, v1, v1
	s_delay_alu instid0(VALU_DEP_2) | instskip(NEXT) | instid1(VALU_DEP_1)
	v_add_nc_u32_e32 v5, v1, v5
	v_add_nc_u32_e32 v5, 0x7fff, v5
	s_delay_alu instid0(VALU_DEP_1) | instskip(NEXT) | instid1(VALU_DEP_1)
	v_lshrrev_b32_e32 v5, 16, v5
	v_cndmask_b32_e32 v1, 0x7fc0, v5, vcc_lo
	global_store_b16 v0, v1, s[6:7]
.LBB10_18:
	s_or_b32 exec_lo, exec_lo, s1
	s_and_saveexec_b32 s1, s0
	s_cbranch_execz .LBB10_26
; %bb.19:
	v_cvt_f32_u32_e32 v1, s19
	s_lshl_b64 s[0:1], s[2:3], 1
	v_add_nc_u32_e32 v6, s19, v3
	s_add_u32 s0, s12, s0
	s_addc_u32 s1, s13, s1
	v_rcp_iflag_f32_e32 v1, v1
	v_mov_b32_e32 v0, 0
	v_cmp_gt_i32_e32 vcc_lo, s18, v6
	v_max_i32_e32 v7, s18, v6
	s_mov_b32 s2, 0
	s_waitcnt_depctr 0xfff
	v_mul_f32_e32 v1, 0x4f7ffffe, v1
	global_load_u16 v0, v0, s[0:1]
	s_sub_i32 s0, 0, s19
	s_cmp_eq_u32 s19, 1
	v_cvt_u32_f32_e32 v1, v1
	s_delay_alu instid0(VALU_DEP_1) | instskip(SKIP_1) | instid1(VALU_DEP_1)
	v_mul_lo_u32 v5, s0, v1
	v_add_co_ci_u32_e64 v6, s0, s19, v3, vcc_lo
	v_sub_nc_u32_e32 v6, v7, v6
	s_delay_alu instid0(VALU_DEP_3) | instskip(NEXT) | instid1(VALU_DEP_1)
	v_mul_hi_u32 v5, v1, v5
	v_add_nc_u32_e32 v1, v1, v5
	s_delay_alu instid0(VALU_DEP_1) | instskip(NEXT) | instid1(VALU_DEP_1)
	v_mul_hi_u32 v1, v6, v1
	v_mul_lo_u32 v5, v1, s19
	s_delay_alu instid0(VALU_DEP_1) | instskip(SKIP_1) | instid1(VALU_DEP_2)
	v_sub_nc_u32_e32 v5, v6, v5
	v_add_nc_u32_e32 v6, 1, v1
	v_subrev_nc_u32_e32 v7, s19, v5
	v_cmp_le_u32_e64 s0, s19, v5
	s_delay_alu instid0(VALU_DEP_1) | instskip(NEXT) | instid1(VALU_DEP_3)
	v_cndmask_b32_e64 v1, v1, v6, s0
	v_cndmask_b32_e64 v5, v5, v7, s0
	s_delay_alu instid0(VALU_DEP_2) | instskip(NEXT) | instid1(VALU_DEP_2)
	v_add_nc_u32_e32 v6, 1, v1
	v_cmp_le_u32_e64 s0, s19, v5
	s_delay_alu instid0(VALU_DEP_1) | instskip(SKIP_1) | instid1(VALU_DEP_1)
	v_cndmask_b32_e64 v1, v1, v6, s0
	s_cselect_b32 s0, -1, 0
	v_add_co_ci_u32_e32 v7, vcc_lo, 1, v1, vcc_lo
	v_mul_f32_e32 v1, v4, v4
	s_delay_alu instid0(VALU_DEP_2) | instskip(NEXT) | instid1(VALU_DEP_2)
	v_cmp_lt_u32_e32 vcc_lo, 1, v7
	v_mul_f32_e32 v5, v4, v1
	s_and_b32 s3, vcc_lo, s0
	s_mov_b32 s0, -1
	s_waitcnt vmcnt(0)
	v_lshlrev_b32_e32 v6, 16, v0
	s_and_saveexec_b32 s1, s3
	s_cbranch_execz .LBB10_23
; %bb.20:
	v_and_b32_e32 v8, -2, v7
	s_delay_alu instid0(VALU_DEP_1)
	v_dual_mov_b32 v9, v8 :: v_dual_add_nc_u32 v0, s20, v3
.LBB10_21:                              ; =>This Inner Loop Header: Depth=1
	s_delay_alu instid0(VALU_DEP_1) | instskip(NEXT) | instid1(VALU_DEP_2)
	v_ashrrev_i32_e32 v1, 31, v0
	v_add_nc_u32_e32 v9, -2, v9
	s_delay_alu instid0(VALU_DEP_2) | instskip(SKIP_1) | instid1(VALU_DEP_2)
	v_lshlrev_b64 v[10:11], 1, v[0:1]
	v_add_nc_u32_e32 v0, 2, v0
	v_add_co_u32 v12, vcc_lo, s10, v10
	s_delay_alu instid0(VALU_DEP_3) | instskip(SKIP_4) | instid1(VALU_DEP_1)
	v_add_co_ci_u32_e32 v13, vcc_lo, s11, v11, vcc_lo
	global_load_b32 v1, v[12:13], off
	v_add_co_u32 v12, vcc_lo, s8, v10
	v_add_co_ci_u32_e32 v13, vcc_lo, s9, v11, vcc_lo
	v_add_co_u32 v10, s0, s4, v10
	v_add_co_ci_u32_e64 v11, s0, s5, v11, s0
	global_load_b32 v12, v[12:13], off
	s_waitcnt vmcnt(1)
	v_and_b32_e32 v13, 0xffff0000, v1
	s_waitcnt vmcnt(0)
	s_delay_alu instid0(VALU_DEP_1) | instskip(SKIP_1) | instid1(VALU_DEP_1)
	v_dual_mul_f32 v13, v5, v13 :: v_dual_and_b32 v14, 0xffff0000, v12
	s_waitcnt lgkmcnt(0)
	v_dual_mul_f32 v13, v2, v13 :: v_dual_lshlrev_b32 v12, 16, v12
	s_delay_alu instid0(VALU_DEP_1) | instskip(SKIP_1) | instid1(VALU_DEP_1)
	v_fma_f32 v13, v4, v14, -v13
	v_lshlrev_b32_e32 v1, 16, v1
	v_mul_f32_e32 v1, v5, v1
	s_delay_alu instid0(VALU_DEP_1) | instskip(NEXT) | instid1(VALU_DEP_1)
	v_mul_f32_e32 v1, v2, v1
	v_fma_f32 v1, v4, v12, -v1
	v_mul_f32_e32 v12, v13, v6
	s_delay_alu instid0(VALU_DEP_1) | instskip(SKIP_1) | instid1(VALU_DEP_2)
	v_bfe_u32 v13, v12, 16, 1
	v_cmp_o_f32_e32 vcc_lo, v12, v12
	v_add3_u32 v13, v12, v13, 0x7fff
	s_delay_alu instid0(VALU_DEP_1) | instskip(NEXT) | instid1(VALU_DEP_1)
	v_lshrrev_b32_e32 v13, 16, v13
	v_dual_mul_f32 v1, v1, v6 :: v_dual_cndmask_b32 v12, 0x7fc0, v13
	s_delay_alu instid0(VALU_DEP_1) | instskip(SKIP_1) | instid1(VALU_DEP_2)
	v_bfe_u32 v14, v1, 16, 1
	v_cmp_o_f32_e32 vcc_lo, v1, v1
	v_add3_u32 v14, v1, v14, 0x7fff
	s_delay_alu instid0(VALU_DEP_1) | instskip(NEXT) | instid1(VALU_DEP_1)
	v_lshrrev_b32_e32 v14, 16, v14
	v_cndmask_b32_e32 v1, 0x7fc0, v14, vcc_lo
	v_cmp_eq_u32_e32 vcc_lo, 0, v9
	s_delay_alu instid0(VALU_DEP_2)
	v_perm_b32 v1, v12, v1, 0x5040100
	s_or_b32 s2, vcc_lo, s2
	global_store_b32 v[10:11], v1, off
	s_and_not1_b32 exec_lo, exec_lo, s2
	s_cbranch_execnz .LBB10_21
; %bb.22:
	s_or_b32 exec_lo, exec_lo, s2
	v_cmp_ne_u32_e32 vcc_lo, v7, v8
	v_add_nc_u32_e32 v3, v3, v8
	s_or_not1_b32 s0, vcc_lo, exec_lo
.LBB10_23:
	s_or_b32 exec_lo, exec_lo, s1
	s_delay_alu instid0(SALU_CYCLE_1)
	s_and_b32 exec_lo, exec_lo, s0
	s_cbranch_execz .LBB10_26
; %bb.24:
	v_ashrrev_i32_e32 v1, 31, v3
	s_ashr_i32 s0, s20, 31
	v_add_co_u32 v0, vcc_lo, v3, s20
	s_lshl_b32 s2, s19, 1
	s_delay_alu instid0(VALU_DEP_2) | instskip(SKIP_1) | instid1(VALU_DEP_1)
	v_add_co_ci_u32_e32 v1, vcc_lo, s0, v1, vcc_lo
	s_mov_b32 s3, 0
	v_lshlrev_b64 v[0:1], 1, v[0:1]
	s_set_inst_prefetch_distance 0x1
	.p2align	6
.LBB10_25:                              ; =>This Inner Loop Header: Depth=1
	s_delay_alu instid0(VALU_DEP_1) | instskip(NEXT) | instid1(VALU_DEP_2)
	v_add_co_u32 v7, vcc_lo, s10, v0
	v_add_co_ci_u32_e32 v8, vcc_lo, s11, v1, vcc_lo
	v_add_nc_u32_e32 v3, s19, v3
	global_load_u16 v9, v[7:8], off
	v_add_co_u32 v7, vcc_lo, s8, v0
	v_add_co_ci_u32_e32 v8, vcc_lo, s9, v1, vcc_lo
	v_cmp_le_i32_e64 s0, s18, v3
	global_load_u16 v7, v[7:8], off
	s_or_b32 s3, s0, s3
	s_waitcnt vmcnt(1)
	v_lshlrev_b32_e32 v8, 16, v9
	s_waitcnt vmcnt(0)
	s_delay_alu instid0(VALU_DEP_1) | instskip(SKIP_1) | instid1(VALU_DEP_1)
	v_dual_mul_f32 v8, v5, v8 :: v_dual_lshlrev_b32 v7, 16, v7
	s_waitcnt lgkmcnt(0)
	v_mul_f32_e32 v8, v2, v8
	s_delay_alu instid0(VALU_DEP_1) | instskip(NEXT) | instid1(VALU_DEP_1)
	v_fma_f32 v7, v4, v7, -v8
	v_mul_f32_e32 v9, v7, v6
	s_delay_alu instid0(VALU_DEP_1) | instskip(SKIP_1) | instid1(VALU_DEP_2)
	v_bfe_u32 v7, v9, 16, 1
	v_cmp_o_f32_e64 s1, v9, v9
	v_add3_u32 v10, v9, v7, 0x7fff
	v_add_co_u32 v7, vcc_lo, s4, v0
	v_add_co_ci_u32_e32 v8, vcc_lo, s5, v1, vcc_lo
	s_delay_alu instid0(VALU_DEP_3) | instskip(SKIP_2) | instid1(VALU_DEP_3)
	v_lshrrev_b32_e32 v10, 16, v10
	v_add_co_u32 v0, vcc_lo, v0, s2
	v_add_co_ci_u32_e32 v1, vcc_lo, 0, v1, vcc_lo
	v_cndmask_b32_e64 v9, 0x7fc0, v10, s1
	global_store_b16 v[7:8], v9, off
	s_and_not1_b32 exec_lo, exec_lo, s3
	s_cbranch_execnz .LBB10_25
.LBB10_26:
	s_set_inst_prefetch_distance 0x2
	s_nop 0
	s_sendmsg sendmsg(MSG_DEALLOC_VGPRS)
	s_endpgm
	.section	.rodata,"a",@progbits
	.p2align	6, 0x0
	.amdhsa_kernel _ZN2at6native12_GLOBAL__N_132weight_norm_bwd_first_dim_kernelIN3c108BFloat16EfEEvPT_S6_PKS5_S8_S8_PKT0_i
		.amdhsa_group_segment_fixed_size 0
		.amdhsa_private_segment_fixed_size 0
		.amdhsa_kernarg_size 312
		.amdhsa_user_sgpr_count 15
		.amdhsa_user_sgpr_dispatch_ptr 0
		.amdhsa_user_sgpr_queue_ptr 0
		.amdhsa_user_sgpr_kernarg_segment_ptr 1
		.amdhsa_user_sgpr_dispatch_id 0
		.amdhsa_user_sgpr_private_segment_size 0
		.amdhsa_wavefront_size32 1
		.amdhsa_uses_dynamic_stack 0
		.amdhsa_enable_private_segment 0
		.amdhsa_system_sgpr_workgroup_id_x 1
		.amdhsa_system_sgpr_workgroup_id_y 0
		.amdhsa_system_sgpr_workgroup_id_z 0
		.amdhsa_system_sgpr_workgroup_info 0
		.amdhsa_system_vgpr_workitem_id 1
		.amdhsa_next_free_vgpr 15
		.amdhsa_next_free_sgpr 23
		.amdhsa_reserve_vcc 1
		.amdhsa_float_round_mode_32 0
		.amdhsa_float_round_mode_16_64 0
		.amdhsa_float_denorm_mode_32 3
		.amdhsa_float_denorm_mode_16_64 3
		.amdhsa_dx10_clamp 1
		.amdhsa_ieee_mode 1
		.amdhsa_fp16_overflow 0
		.amdhsa_workgroup_processor_mode 1
		.amdhsa_memory_ordered 1
		.amdhsa_forward_progress 0
		.amdhsa_shared_vgpr_count 0
		.amdhsa_exception_fp_ieee_invalid_op 0
		.amdhsa_exception_fp_denorm_src 0
		.amdhsa_exception_fp_ieee_div_zero 0
		.amdhsa_exception_fp_ieee_overflow 0
		.amdhsa_exception_fp_ieee_underflow 0
		.amdhsa_exception_fp_ieee_inexact 0
		.amdhsa_exception_int_div_zero 0
	.end_amdhsa_kernel
	.section	.text._ZN2at6native12_GLOBAL__N_132weight_norm_bwd_first_dim_kernelIN3c108BFloat16EfEEvPT_S6_PKS5_S8_S8_PKT0_i,"axG",@progbits,_ZN2at6native12_GLOBAL__N_132weight_norm_bwd_first_dim_kernelIN3c108BFloat16EfEEvPT_S6_PKS5_S8_S8_PKT0_i,comdat
.Lfunc_end10:
	.size	_ZN2at6native12_GLOBAL__N_132weight_norm_bwd_first_dim_kernelIN3c108BFloat16EfEEvPT_S6_PKS5_S8_S8_PKT0_i, .Lfunc_end10-_ZN2at6native12_GLOBAL__N_132weight_norm_bwd_first_dim_kernelIN3c108BFloat16EfEEvPT_S6_PKS5_S8_S8_PKT0_i
                                        ; -- End function
	.section	.AMDGPU.csdata,"",@progbits
; Kernel info:
; codeLenInByte = 1864
; NumSgprs: 25
; NumVgprs: 15
; ScratchSize: 0
; MemoryBound: 0
; FloatMode: 240
; IeeeMode: 1
; LDSByteSize: 0 bytes/workgroup (compile time only)
; SGPRBlocks: 3
; VGPRBlocks: 1
; NumSGPRsForWavesPerEU: 25
; NumVGPRsForWavesPerEU: 15
; Occupancy: 16
; WaveLimiterHint : 0
; COMPUTE_PGM_RSRC2:SCRATCH_EN: 0
; COMPUTE_PGM_RSRC2:USER_SGPR: 15
; COMPUTE_PGM_RSRC2:TRAP_HANDLER: 0
; COMPUTE_PGM_RSRC2:TGID_X_EN: 1
; COMPUTE_PGM_RSRC2:TGID_Y_EN: 0
; COMPUTE_PGM_RSRC2:TGID_Z_EN: 0
; COMPUTE_PGM_RSRC2:TIDIG_COMP_CNT: 1
	.section	.text._ZN2at6native12_GLOBAL__N_132weight_norm_bwd_first_dim_kernelIN3c104HalfEfEEvPT_S6_PKS5_S8_S8_PKT0_i,"axG",@progbits,_ZN2at6native12_GLOBAL__N_132weight_norm_bwd_first_dim_kernelIN3c104HalfEfEEvPT_S6_PKS5_S8_S8_PKT0_i,comdat
	.globl	_ZN2at6native12_GLOBAL__N_132weight_norm_bwd_first_dim_kernelIN3c104HalfEfEEvPT_S6_PKS5_S8_S8_PKT0_i ; -- Begin function _ZN2at6native12_GLOBAL__N_132weight_norm_bwd_first_dim_kernelIN3c104HalfEfEEvPT_S6_PKS5_S8_S8_PKT0_i
	.p2align	8
	.type	_ZN2at6native12_GLOBAL__N_132weight_norm_bwd_first_dim_kernelIN3c104HalfEfEEvPT_S6_PKS5_S8_S8_PKT0_i,@function
_ZN2at6native12_GLOBAL__N_132weight_norm_bwd_first_dim_kernelIN3c104HalfEfEEvPT_S6_PKS5_S8_S8_PKT0_i: ; @_ZN2at6native12_GLOBAL__N_132weight_norm_bwd_first_dim_kernelIN3c104HalfEfEEvPT_S6_PKS5_S8_S8_PKT0_i
; %bb.0:
	s_mov_b32 s2, s15
	s_clause 0x3
	s_load_b32 s18, s[0:1], 0x30
	s_load_b32 s3, s[0:1], 0x44
	s_load_b128 s[12:15], s[0:1], 0x20
	s_load_b256 s[4:11], s[0:1], 0x0
	v_dual_mov_b32 v4, 0 :: v_dual_and_b32 v3, 0x3ff, v0
	s_add_u32 s16, s0, 56
	s_addc_u32 s17, s1, 0
	s_waitcnt lgkmcnt(0)
	s_delay_alu instid0(VALU_DEP_1) | instskip(SKIP_2) | instid1(VALU_DEP_1)
	v_cmp_gt_i32_e64 s0, s18, v3
	s_and_b32 s19, s3, 0xffff
	s_mul_i32 s20, s2, s18
	s_and_saveexec_b32 s3, s0
	s_cbranch_execz .LBB11_4
; %bb.1:
	v_dual_mov_b32 v4, 0 :: v_dual_add_nc_u32 v1, s20, v3
	v_mov_b32_e32 v5, v3
	s_lshl_b32 s22, s19, 1
	s_mov_b32 s21, 0
	s_delay_alu instid0(VALU_DEP_2) | instskip(NEXT) | instid1(VALU_DEP_1)
	v_ashrrev_i32_e32 v2, 31, v1
	v_lshlrev_b64 v[1:2], 1, v[1:2]
	.p2align	6
.LBB11_2:                               ; =>This Inner Loop Header: Depth=1
	s_delay_alu instid0(VALU_DEP_1) | instskip(NEXT) | instid1(VALU_DEP_2)
	v_add_co_u32 v6, vcc_lo, s8, v1
	v_add_co_ci_u32_e32 v7, vcc_lo, s9, v2, vcc_lo
	v_add_co_u32 v8, vcc_lo, s10, v1
	v_add_co_ci_u32_e32 v9, vcc_lo, s11, v2, vcc_lo
	v_add_nc_u32_e32 v5, s19, v5
	global_load_u16 v6, v[6:7], off
	global_load_u16 v7, v[8:9], off
	v_add_co_u32 v1, vcc_lo, v1, s22
	v_cmp_le_i32_e64 s1, s18, v5
	v_add_co_ci_u32_e32 v2, vcc_lo, 0, v2, vcc_lo
	s_delay_alu instid0(VALU_DEP_2)
	s_or_b32 s21, s1, s21
	s_waitcnt vmcnt(0)
	v_fma_mix_f32 v4, v6, v7, v4 op_sel_hi:[1,1,0]
	s_and_not1_b32 exec_lo, exec_lo, s21
	s_cbranch_execnz .LBB11_2
; %bb.3:
	s_or_b32 exec_lo, exec_lo, s21
.LBB11_4:
	s_delay_alu instid0(SALU_CYCLE_1) | instskip(SKIP_2) | instid1(VALU_DEP_1)
	s_or_b32 exec_lo, exec_lo, s3
	s_load_b32 s1, s[16:17], 0xc
	v_bfe_u32 v0, v0, 10, 10
	v_mad_u32_u24 v0, v0, s19, v3
	s_waitcnt lgkmcnt(0)
	s_lshr_b32 s1, s1, 16
	s_delay_alu instid0(SALU_CYCLE_1) | instskip(NEXT) | instid1(SALU_CYCLE_1)
	s_mul_i32 s1, s1, s19
	s_cmp_gt_i32 s1, 63
	s_cselect_b32 s3, -1, 0
	s_cmp_lt_i32 s1, 64
	s_cbranch_scc1 .LBB11_6
; %bb.5:
	v_lshl_add_u32 v1, v0, 2, 0
	ds_store_b32 v1, v4
	s_waitcnt lgkmcnt(0)
	s_barrier
	buffer_gl0_inv
.LBB11_6:
	s_ashr_i32 s1, s1, 1
	s_delay_alu instid0(SALU_CYCLE_1)
	s_cmp_lt_i32 s1, 64
	s_cbranch_scc1 .LBB11_11
; %bb.7:
	v_lshl_add_u32 v1, v0, 2, 0
	s_branch .LBB11_9
	.p2align	6
.LBB11_8:                               ;   in Loop: Header=BB11_9 Depth=1
	s_or_b32 exec_lo, exec_lo, s16
	s_lshr_b32 s16, s1, 1
	s_cmpk_lt_u32 s1, 0x80
	s_mov_b32 s1, s16
	s_waitcnt lgkmcnt(0)
	s_barrier
	buffer_gl0_inv
	s_cbranch_scc1 .LBB11_11
.LBB11_9:                               ; =>This Inner Loop Header: Depth=1
	s_mov_b32 s16, exec_lo
	v_cmpx_gt_i32_e64 s1, v0
	s_cbranch_execz .LBB11_8
; %bb.10:                               ;   in Loop: Header=BB11_9 Depth=1
	v_lshl_add_u32 v2, s1, 2, v1
	ds_load_b32 v5, v1
	ds_load_b32 v2, v2
	s_waitcnt lgkmcnt(0)
	v_add_f32_e32 v2, v5, v2
	ds_store_b32 v1, v2
	s_branch .LBB11_8
.LBB11_11:
	s_mov_b32 s1, exec_lo
	v_cmpx_gt_u32_e32 32, v0
	s_cbranch_execz .LBB11_16
; %bb.12:
	s_and_not1_b32 vcc_lo, exec_lo, s3
	s_cbranch_vccnz .LBB11_14
; %bb.13:
	v_lshl_add_u32 v1, v0, 2, 0
	ds_load_2addr_b32 v[1:2], v1 offset1:32
	s_waitcnt lgkmcnt(0)
	v_add_f32_e32 v4, v1, v2
.LBB11_14:
	v_mbcnt_lo_u32_b32 v1, -1, 0
	s_delay_alu instid0(VALU_DEP_1) | instskip(SKIP_2) | instid1(VALU_DEP_2)
	v_cmp_gt_u32_e32 vcc_lo, 16, v1
	v_cndmask_b32_e64 v2, 0, 1, vcc_lo
	v_cmp_gt_u32_e32 vcc_lo, 24, v1
	v_lshlrev_b32_e32 v2, 4, v2
	v_cndmask_b32_e64 v5, 0, 1, vcc_lo
	v_cmp_gt_u32_e32 vcc_lo, 28, v1
	s_delay_alu instid0(VALU_DEP_3) | instskip(SKIP_3) | instid1(VALU_DEP_1)
	v_add_lshl_u32 v2, v2, v1, 2
	ds_bpermute_b32 v2, v2, v4
	s_waitcnt lgkmcnt(0)
	v_dual_add_f32 v2, v4, v2 :: v_dual_lshlrev_b32 v5, 3, v5
	v_add_lshl_u32 v5, v5, v1, 2
	ds_bpermute_b32 v4, v5, v2
	v_cndmask_b32_e64 v5, 0, 1, vcc_lo
	v_cmp_gt_u32_e32 vcc_lo, 30, v1
	s_waitcnt lgkmcnt(0)
	s_delay_alu instid0(VALU_DEP_2) | instskip(NEXT) | instid1(VALU_DEP_1)
	v_dual_add_f32 v2, v2, v4 :: v_dual_lshlrev_b32 v5, 2, v5
	v_add_lshl_u32 v5, v5, v1, 2
	ds_bpermute_b32 v4, v5, v2
	v_cndmask_b32_e64 v5, 0, 1, vcc_lo
	v_cmp_ne_u32_e32 vcc_lo, 31, v1
	s_waitcnt lgkmcnt(0)
	s_delay_alu instid0(VALU_DEP_2) | instskip(NEXT) | instid1(VALU_DEP_1)
	v_dual_add_f32 v2, v2, v4 :: v_dual_lshlrev_b32 v5, 1, v5
	v_add_lshl_u32 v5, v5, v1, 2
	ds_bpermute_b32 v4, v5, v2
	v_add_co_ci_u32_e32 v5, vcc_lo, 0, v1, vcc_lo
	v_cmp_eq_u32_e32 vcc_lo, 0, v0
	s_waitcnt lgkmcnt(0)
	s_delay_alu instid0(VALU_DEP_2)
	v_dual_add_f32 v1, v2, v4 :: v_dual_lshlrev_b32 v2, 2, v5
	ds_bpermute_b32 v2, v2, v1
	s_and_b32 exec_lo, exec_lo, vcc_lo
	s_cbranch_execz .LBB11_16
; %bb.15:
	s_waitcnt lgkmcnt(0)
	v_dual_add_f32 v0, v1, v2 :: v_dual_mov_b32 v1, 0
	ds_store_b32 v1, v0
.LBB11_16:
	s_or_b32 exec_lo, exec_lo, s1
	s_ashr_i32 s3, s2, 31
	s_waitcnt lgkmcnt(0)
	s_lshl_b64 s[16:17], s[2:3], 2
	s_barrier
	s_add_u32 s14, s14, s16
	s_addc_u32 s15, s15, s17
	buffer_gl0_inv
	s_load_b32 s1, s[14:15], 0x0
	s_waitcnt lgkmcnt(0)
	v_div_scale_f32 v1, null, s1, s1, 1.0
	v_div_scale_f32 v5, vcc_lo, 1.0, s1, 1.0
	s_delay_alu instid0(VALU_DEP_2) | instskip(SKIP_2) | instid1(VALU_DEP_1)
	v_rcp_f32_e32 v4, v1
	s_waitcnt_depctr 0xfff
	v_fma_f32 v0, -v1, v4, 1.0
	v_fmac_f32_e32 v4, v0, v4
	v_mov_b32_e32 v0, 0
	s_delay_alu instid0(VALU_DEP_2) | instskip(NEXT) | instid1(VALU_DEP_1)
	v_mul_f32_e32 v6, v5, v4
	v_fma_f32 v2, -v1, v6, v5
	s_delay_alu instid0(VALU_DEP_1) | instskip(SKIP_2) | instid1(VALU_DEP_1)
	v_fmac_f32_e32 v6, v2, v4
	ds_load_b32 v2, v0
	v_fma_f32 v1, -v1, v6, v5
	v_div_fmas_f32 v1, v1, v4, v6
	s_delay_alu instid0(VALU_DEP_1)
	v_div_fixup_f32 v4, v1, s1, 1.0
	s_mov_b32 s1, exec_lo
	v_cmpx_eq_u32_e32 0, v3
	s_cbranch_execz .LBB11_18
; %bb.17:
	s_lshl_b64 s[14:15], s[2:3], 1
	s_waitcnt lgkmcnt(0)
	v_fma_mixlo_f16 v1, v2, v4, 0
	s_add_u32 s6, s6, s14
	s_addc_u32 s7, s7, s15
	global_store_b16 v0, v1, s[6:7]
.LBB11_18:
	s_or_b32 exec_lo, exec_lo, s1
	s_and_saveexec_b32 s1, s0
	s_cbranch_execz .LBB11_26
; %bb.19:
	v_cvt_f32_u32_e32 v1, s19
	s_lshl_b64 s[0:1], s[2:3], 1
	v_add_nc_u32_e32 v6, s19, v3
	s_add_u32 s0, s12, s0
	s_addc_u32 s1, s13, s1
	v_rcp_iflag_f32_e32 v1, v1
	v_mov_b32_e32 v0, 0
	v_cmp_gt_i32_e32 vcc_lo, s18, v6
	v_max_i32_e32 v7, s18, v6
	s_mov_b32 s2, 0
	s_waitcnt_depctr 0xfff
	v_mul_f32_e32 v1, 0x4f7ffffe, v1
	global_load_u16 v0, v0, s[0:1]
	s_sub_i32 s0, 0, s19
	s_cmp_eq_u32 s19, 1
	v_cvt_u32_f32_e32 v1, v1
	s_delay_alu instid0(VALU_DEP_1) | instskip(SKIP_1) | instid1(VALU_DEP_1)
	v_mul_lo_u32 v5, s0, v1
	v_add_co_ci_u32_e64 v6, s0, s19, v3, vcc_lo
	v_sub_nc_u32_e32 v6, v7, v6
	s_delay_alu instid0(VALU_DEP_3) | instskip(NEXT) | instid1(VALU_DEP_1)
	v_mul_hi_u32 v5, v1, v5
	v_add_nc_u32_e32 v1, v1, v5
	s_delay_alu instid0(VALU_DEP_1) | instskip(NEXT) | instid1(VALU_DEP_1)
	v_mul_hi_u32 v1, v6, v1
	v_mul_lo_u32 v5, v1, s19
	s_delay_alu instid0(VALU_DEP_1) | instskip(SKIP_1) | instid1(VALU_DEP_2)
	v_sub_nc_u32_e32 v5, v6, v5
	v_add_nc_u32_e32 v6, 1, v1
	v_subrev_nc_u32_e32 v7, s19, v5
	v_cmp_le_u32_e64 s0, s19, v5
	s_delay_alu instid0(VALU_DEP_1) | instskip(NEXT) | instid1(VALU_DEP_3)
	v_cndmask_b32_e64 v1, v1, v6, s0
	v_cndmask_b32_e64 v5, v5, v7, s0
	s_delay_alu instid0(VALU_DEP_2) | instskip(NEXT) | instid1(VALU_DEP_2)
	v_add_nc_u32_e32 v6, 1, v1
	v_cmp_le_u32_e64 s0, s19, v5
	s_delay_alu instid0(VALU_DEP_1) | instskip(SKIP_1) | instid1(VALU_DEP_1)
	v_cndmask_b32_e64 v1, v1, v6, s0
	s_cselect_b32 s0, -1, 0
	v_add_co_ci_u32_e32 v7, vcc_lo, 1, v1, vcc_lo
	v_mul_f32_e32 v1, v4, v4
	s_delay_alu instid0(VALU_DEP_2) | instskip(NEXT) | instid1(VALU_DEP_2)
	v_cmp_lt_u32_e32 vcc_lo, 1, v7
	v_mul_f32_e32 v5, v4, v1
	s_and_b32 s3, vcc_lo, s0
	s_mov_b32 s0, -1
	s_waitcnt vmcnt(0)
	v_cvt_f32_f16_e32 v6, v0
	s_and_saveexec_b32 s1, s3
	s_cbranch_execz .LBB11_23
; %bb.20:
	v_and_b32_e32 v8, -2, v7
	s_delay_alu instid0(VALU_DEP_1)
	v_dual_mov_b32 v9, v8 :: v_dual_add_nc_u32 v0, s20, v3
	s_set_inst_prefetch_distance 0x1
	.p2align	6
.LBB11_21:                              ; =>This Inner Loop Header: Depth=1
	s_delay_alu instid0(VALU_DEP_1) | instskip(NEXT) | instid1(VALU_DEP_2)
	v_ashrrev_i32_e32 v1, 31, v0
	v_add_nc_u32_e32 v9, -2, v9
	s_delay_alu instid0(VALU_DEP_2) | instskip(SKIP_1) | instid1(VALU_DEP_2)
	v_lshlrev_b64 v[10:11], 1, v[0:1]
	v_add_nc_u32_e32 v0, 2, v0
	v_add_co_u32 v12, vcc_lo, s10, v10
	s_delay_alu instid0(VALU_DEP_3)
	v_add_co_ci_u32_e32 v13, vcc_lo, s11, v11, vcc_lo
	global_load_b32 v1, v[12:13], off
	v_add_co_u32 v12, vcc_lo, s8, v10
	v_add_co_ci_u32_e32 v13, vcc_lo, s9, v11, vcc_lo
	v_cmp_eq_u32_e32 vcc_lo, 0, v9
	v_add_co_u32 v10, s0, s4, v10
	global_load_b32 v12, v[12:13], off
	v_add_co_ci_u32_e64 v11, s0, s5, v11, s0
	s_or_b32 s2, vcc_lo, s2
	s_waitcnt vmcnt(1)
	v_lshrrev_b32_e32 v13, 16, v1
	v_cvt_f32_f16_e32 v1, v1
	s_delay_alu instid0(VALU_DEP_2) | instskip(NEXT) | instid1(VALU_DEP_2)
	v_cvt_f32_f16_e32 v13, v13
	v_mul_f32_e32 v1, v5, v1
	s_delay_alu instid0(VALU_DEP_2) | instskip(SKIP_1) | instid1(VALU_DEP_2)
	v_mul_f32_e32 v13, v5, v13
	s_waitcnt lgkmcnt(0)
	v_mul_f32_e32 v1, v2, v1
	s_delay_alu instid0(VALU_DEP_2) | instskip(SKIP_1) | instid1(VALU_DEP_2)
	v_mul_f32_e32 v13, v2, v13
	s_waitcnt vmcnt(0)
	v_fma_mix_f32 v1, v4, v12, -v1 op_sel_hi:[0,1,0]
	s_delay_alu instid0(VALU_DEP_2) | instskip(NEXT) | instid1(VALU_DEP_2)
	v_fma_mix_f32 v12, v4, v12, -v13 op_sel:[0,1,0] op_sel_hi:[0,1,0]
	v_fma_mixlo_f16 v1, v1, v6, 0
	s_delay_alu instid0(VALU_DEP_1)
	v_fma_mixhi_f16 v1, v12, v6, 0
	global_store_b32 v[10:11], v1, off
	s_and_not1_b32 exec_lo, exec_lo, s2
	s_cbranch_execnz .LBB11_21
; %bb.22:
	s_set_inst_prefetch_distance 0x2
	s_or_b32 exec_lo, exec_lo, s2
	v_cmp_ne_u32_e32 vcc_lo, v7, v8
	v_add_nc_u32_e32 v3, v3, v8
	s_or_not1_b32 s0, vcc_lo, exec_lo
.LBB11_23:
	s_or_b32 exec_lo, exec_lo, s1
	s_delay_alu instid0(SALU_CYCLE_1)
	s_and_b32 exec_lo, exec_lo, s0
	s_cbranch_execz .LBB11_26
; %bb.24:
	v_ashrrev_i32_e32 v1, 31, v3
	s_ashr_i32 s0, s20, 31
	v_add_co_u32 v0, vcc_lo, v3, s20
	s_lshl_b32 s1, s19, 1
	s_delay_alu instid0(VALU_DEP_2) | instskip(SKIP_1) | instid1(VALU_DEP_1)
	v_add_co_ci_u32_e32 v1, vcc_lo, s0, v1, vcc_lo
	s_mov_b32 s2, 0
	v_lshlrev_b64 v[0:1], 1, v[0:1]
	.p2align	6
.LBB11_25:                              ; =>This Inner Loop Header: Depth=1
	s_delay_alu instid0(VALU_DEP_1) | instskip(NEXT) | instid1(VALU_DEP_2)
	v_add_co_u32 v7, vcc_lo, s10, v0
	v_add_co_ci_u32_e32 v8, vcc_lo, s11, v1, vcc_lo
	v_add_nc_u32_e32 v3, s19, v3
	global_load_u16 v9, v[7:8], off
	v_add_co_u32 v7, vcc_lo, s8, v0
	v_add_co_ci_u32_e32 v8, vcc_lo, s9, v1, vcc_lo
	v_cmp_le_i32_e64 s0, s18, v3
	global_load_u16 v10, v[7:8], off
	s_or_b32 s2, s0, s2
	s_waitcnt vmcnt(1)
	v_cvt_f32_f16_e32 v7, v9
	s_delay_alu instid0(VALU_DEP_1) | instskip(SKIP_2) | instid1(VALU_DEP_2)
	v_mul_f32_e32 v8, v5, v7
	v_add_co_u32 v7, vcc_lo, s4, v0
	s_waitcnt lgkmcnt(0)
	v_mul_f32_e32 v9, v2, v8
	v_add_co_ci_u32_e32 v8, vcc_lo, s5, v1, vcc_lo
	v_add_co_u32 v0, vcc_lo, v0, s1
	s_waitcnt vmcnt(0)
	s_delay_alu instid0(VALU_DEP_3) | instskip(SKIP_1) | instid1(VALU_DEP_2)
	v_fma_mix_f32 v9, v4, v10, -v9 op_sel_hi:[0,1,0]
	v_add_co_ci_u32_e32 v1, vcc_lo, 0, v1, vcc_lo
	v_fma_mixlo_f16 v9, v9, v6, 0
	global_store_b16 v[7:8], v9, off
	s_and_not1_b32 exec_lo, exec_lo, s2
	s_cbranch_execnz .LBB11_25
.LBB11_26:
	s_nop 0
	s_sendmsg sendmsg(MSG_DEALLOC_VGPRS)
	s_endpgm
	.section	.rodata,"a",@progbits
	.p2align	6, 0x0
	.amdhsa_kernel _ZN2at6native12_GLOBAL__N_132weight_norm_bwd_first_dim_kernelIN3c104HalfEfEEvPT_S6_PKS5_S8_S8_PKT0_i
		.amdhsa_group_segment_fixed_size 0
		.amdhsa_private_segment_fixed_size 0
		.amdhsa_kernarg_size 312
		.amdhsa_user_sgpr_count 15
		.amdhsa_user_sgpr_dispatch_ptr 0
		.amdhsa_user_sgpr_queue_ptr 0
		.amdhsa_user_sgpr_kernarg_segment_ptr 1
		.amdhsa_user_sgpr_dispatch_id 0
		.amdhsa_user_sgpr_private_segment_size 0
		.amdhsa_wavefront_size32 1
		.amdhsa_uses_dynamic_stack 0
		.amdhsa_enable_private_segment 0
		.amdhsa_system_sgpr_workgroup_id_x 1
		.amdhsa_system_sgpr_workgroup_id_y 0
		.amdhsa_system_sgpr_workgroup_id_z 0
		.amdhsa_system_sgpr_workgroup_info 0
		.amdhsa_system_vgpr_workitem_id 1
		.amdhsa_next_free_vgpr 14
		.amdhsa_next_free_sgpr 23
		.amdhsa_reserve_vcc 1
		.amdhsa_float_round_mode_32 0
		.amdhsa_float_round_mode_16_64 0
		.amdhsa_float_denorm_mode_32 3
		.amdhsa_float_denorm_mode_16_64 3
		.amdhsa_dx10_clamp 1
		.amdhsa_ieee_mode 1
		.amdhsa_fp16_overflow 0
		.amdhsa_workgroup_processor_mode 1
		.amdhsa_memory_ordered 1
		.amdhsa_forward_progress 0
		.amdhsa_shared_vgpr_count 0
		.amdhsa_exception_fp_ieee_invalid_op 0
		.amdhsa_exception_fp_denorm_src 0
		.amdhsa_exception_fp_ieee_div_zero 0
		.amdhsa_exception_fp_ieee_overflow 0
		.amdhsa_exception_fp_ieee_underflow 0
		.amdhsa_exception_fp_ieee_inexact 0
		.amdhsa_exception_int_div_zero 0
	.end_amdhsa_kernel
	.section	.text._ZN2at6native12_GLOBAL__N_132weight_norm_bwd_first_dim_kernelIN3c104HalfEfEEvPT_S6_PKS5_S8_S8_PKT0_i,"axG",@progbits,_ZN2at6native12_GLOBAL__N_132weight_norm_bwd_first_dim_kernelIN3c104HalfEfEEvPT_S6_PKS5_S8_S8_PKT0_i,comdat
.Lfunc_end11:
	.size	_ZN2at6native12_GLOBAL__N_132weight_norm_bwd_first_dim_kernelIN3c104HalfEfEEvPT_S6_PKS5_S8_S8_PKT0_i, .Lfunc_end11-_ZN2at6native12_GLOBAL__N_132weight_norm_bwd_first_dim_kernelIN3c104HalfEfEEvPT_S6_PKS5_S8_S8_PKT0_i
                                        ; -- End function
	.section	.AMDGPU.csdata,"",@progbits
; Kernel info:
; codeLenInByte = 1656
; NumSgprs: 25
; NumVgprs: 14
; ScratchSize: 0
; MemoryBound: 0
; FloatMode: 240
; IeeeMode: 1
; LDSByteSize: 0 bytes/workgroup (compile time only)
; SGPRBlocks: 3
; VGPRBlocks: 1
; NumSGPRsForWavesPerEU: 25
; NumVGPRsForWavesPerEU: 14
; Occupancy: 16
; WaveLimiterHint : 0
; COMPUTE_PGM_RSRC2:SCRATCH_EN: 0
; COMPUTE_PGM_RSRC2:USER_SGPR: 15
; COMPUTE_PGM_RSRC2:TRAP_HANDLER: 0
; COMPUTE_PGM_RSRC2:TGID_X_EN: 1
; COMPUTE_PGM_RSRC2:TGID_Y_EN: 0
; COMPUTE_PGM_RSRC2:TGID_Z_EN: 0
; COMPUTE_PGM_RSRC2:TIDIG_COMP_CNT: 1
	.section	.text._ZN2at6native12_GLOBAL__N_131weight_norm_bwd_last_dim_kernelIddEEvPT_S4_PKS3_S6_S6_PKT0_ii,"axG",@progbits,_ZN2at6native12_GLOBAL__N_131weight_norm_bwd_last_dim_kernelIddEEvPT_S4_PKS3_S6_S6_PKT0_ii,comdat
	.globl	_ZN2at6native12_GLOBAL__N_131weight_norm_bwd_last_dim_kernelIddEEvPT_S4_PKS3_S6_S6_PKT0_ii ; -- Begin function _ZN2at6native12_GLOBAL__N_131weight_norm_bwd_last_dim_kernelIddEEvPT_S4_PKS3_S6_S6_PKT0_ii
	.p2align	8
	.type	_ZN2at6native12_GLOBAL__N_131weight_norm_bwd_last_dim_kernelIddEEvPT_S4_PKS3_S6_S6_PKT0_ii,@function
_ZN2at6native12_GLOBAL__N_131weight_norm_bwd_last_dim_kernelIddEEvPT_S4_PKS3_S6_S6_PKT0_ii: ; @_ZN2at6native12_GLOBAL__N_131weight_norm_bwd_last_dim_kernelIddEEvPT_S4_PKS3_S6_S6_PKT0_ii
; %bb.0:
	s_clause 0x1
	s_load_b32 s13, s[0:1], 0x44
	s_load_b64 s[2:3], s[0:1], 0x30
	v_and_b32_e32 v2, 0x3ff, v0
	s_clause 0x1
	s_load_b128 s[16:19], s[0:1], 0x20
	s_load_b256 s[4:11], s[0:1], 0x0
	v_bfe_u32 v11, v0, 10, 10
	s_waitcnt lgkmcnt(0)
	s_and_b32 s12, s13, 0xffff
	s_delay_alu instid0(VALU_DEP_1) | instskip(SKIP_2) | instid1(VALU_DEP_1)
	v_cmp_gt_i32_e64 s0, s3, v11
	v_mad_u64_u32 v[3:4], null, s15, s12, v[2:3]
	s_lshr_b32 s1, s13, 16
	v_mad_u64_u32 v[0:1], null, v11, s2, v[3:4]
	v_cmp_gt_i32_e32 vcc_lo, s2, v3
	v_mov_b32_e32 v4, 0
	v_mov_b32_e32 v5, 0
	s_mul_i32 s2, s1, s2
	s_and_b32 s0, vcc_lo, s0
	s_delay_alu instid0(SALU_CYCLE_1)
	s_and_saveexec_b32 s13, s0
	s_cbranch_execz .LBB12_4
; %bb.1:
	v_dual_mov_b32 v4, 0 :: v_dual_mov_b32 v1, v11
	v_dual_mov_b32 v5, 0 :: v_dual_mov_b32 v6, v0
	s_mov_b32 s14, 0
	.p2align	6
.LBB12_2:                               ; =>This Inner Loop Header: Depth=1
	s_delay_alu instid0(VALU_DEP_1) | instskip(NEXT) | instid1(VALU_DEP_3)
	v_ashrrev_i32_e32 v7, 31, v6
	v_add_nc_u32_e32 v1, s1, v1
	s_delay_alu instid0(VALU_DEP_2) | instskip(SKIP_1) | instid1(VALU_DEP_2)
	v_lshlrev_b64 v[7:8], 3, v[6:7]
	v_add_nc_u32_e32 v6, s2, v6
	v_add_co_u32 v9, vcc_lo, s8, v7
	s_delay_alu instid0(VALU_DEP_3)
	v_add_co_ci_u32_e32 v10, vcc_lo, s9, v8, vcc_lo
	v_add_co_u32 v7, vcc_lo, s10, v7
	v_add_co_ci_u32_e32 v8, vcc_lo, s11, v8, vcc_lo
	v_cmp_le_i32_e32 vcc_lo, s3, v1
	global_load_b64 v[9:10], v[9:10], off
	global_load_b64 v[7:8], v[7:8], off
	s_or_b32 s14, vcc_lo, s14
	s_waitcnt vmcnt(0)
	v_fma_f64 v[4:5], v[9:10], v[7:8], v[4:5]
	s_and_not1_b32 exec_lo, exec_lo, s14
	s_cbranch_execnz .LBB12_2
; %bb.3:
	s_or_b32 exec_lo, exec_lo, s14
.LBB12_4:
	s_delay_alu instid0(SALU_CYCLE_1) | instskip(SKIP_2) | instid1(SALU_CYCLE_1)
	s_or_b32 exec_lo, exec_lo, s13
	v_mad_u32_u24 v6, v11, s12, v2
	s_mul_i32 s13, s1, s12
	s_cmp_gt_i32 s13, 63
	s_cselect_b32 s14, -1, 0
	s_delay_alu instid0(VALU_DEP_1)
	v_lshl_add_u32 v1, v6, 3, 0
	s_cmp_lt_i32 s13, 64
	s_cbranch_scc1 .LBB12_6
; %bb.5:
	ds_store_b64 v1, v[4:5]
	s_waitcnt lgkmcnt(0)
	s_barrier
	buffer_gl0_inv
.LBB12_6:
	s_ashr_i32 s13, s13, 1
	s_delay_alu instid0(SALU_CYCLE_1)
	s_cmp_lt_i32 s13, 64
	s_cbranch_scc0 .LBB12_22
.LBB12_7:
	s_mov_b32 s13, exec_lo
	v_cmpx_gt_u32_e32 32, v6
	s_cbranch_execz .LBB12_15
; %bb.8:
	s_and_not1_b32 vcc_lo, exec_lo, s14
	s_cbranch_vccnz .LBB12_10
; %bb.9:
	ds_load_2addr_b64 v[7:10], v1 offset1:32
	s_waitcnt lgkmcnt(0)
	v_add_f64 v[4:5], v[7:8], v[9:10]
.LBB12_10:
	s_cmp_gt_u32 s12, 16
	s_mov_b32 s14, 16
	s_cbranch_scc1 .LBB12_13
; %bb.11:
	v_mbcnt_lo_u32_b32 v7, -1, 0
.LBB12_12:                              ; =>This Inner Loop Header: Depth=1
	s_delay_alu instid0(VALU_DEP_1) | instskip(NEXT) | instid1(VALU_DEP_1)
	v_add_nc_u32_e32 v8, s14, v7
	v_cmp_gt_u32_e32 vcc_lo, 32, v8
	v_cndmask_b32_e64 v8, 0, s14, vcc_lo
	s_lshr_b32 s14, s14, 1
	s_delay_alu instid0(SALU_CYCLE_1) | instskip(NEXT) | instid1(VALU_DEP_1)
	s_cmp_lt_u32 s14, s12
	v_add_lshl_u32 v9, v8, v7, 2
	ds_bpermute_b32 v8, v9, v4
	ds_bpermute_b32 v9, v9, v5
	s_waitcnt lgkmcnt(0)
	v_add_f64 v[4:5], v[4:5], v[8:9]
	s_cbranch_scc0 .LBB12_12
.LBB12_13:
	v_cmp_gt_u32_e32 vcc_lo, s12, v6
	s_and_b32 exec_lo, exec_lo, vcc_lo
	s_cbranch_execz .LBB12_15
; %bb.14:
	ds_store_b64 v1, v[4:5]
.LBB12_15:
	s_or_b32 exec_lo, exec_lo, s13
	v_ashrrev_i32_e32 v4, 31, v3
	s_waitcnt lgkmcnt(0)
	s_barrier
	buffer_gl0_inv
	v_lshl_add_u32 v1, v2, 3, 0
	v_lshlrev_b64 v[7:8], 3, v[3:4]
	s_mov_b32 s12, exec_lo
	s_delay_alu instid0(VALU_DEP_1) | instskip(NEXT) | instid1(VALU_DEP_2)
	v_add_co_u32 v3, vcc_lo, s18, v7
	v_add_co_ci_u32_e32 v4, vcc_lo, s19, v8, vcc_lo
	global_load_b64 v[3:4], v[3:4], off
	s_waitcnt vmcnt(0)
	v_div_scale_f64 v[5:6], null, v[3:4], v[3:4], 1.0
	s_delay_alu instid0(VALU_DEP_1) | instskip(SKIP_2) | instid1(VALU_DEP_1)
	v_rcp_f64_e32 v[9:10], v[5:6]
	s_waitcnt_depctr 0xfff
	v_fma_f64 v[12:13], -v[5:6], v[9:10], 1.0
	v_fma_f64 v[9:10], v[9:10], v[12:13], v[9:10]
	s_delay_alu instid0(VALU_DEP_1) | instskip(NEXT) | instid1(VALU_DEP_1)
	v_fma_f64 v[12:13], -v[5:6], v[9:10], 1.0
	v_fma_f64 v[9:10], v[9:10], v[12:13], v[9:10]
	v_div_scale_f64 v[12:13], vcc_lo, 1.0, v[3:4], 1.0
	s_delay_alu instid0(VALU_DEP_1) | instskip(NEXT) | instid1(VALU_DEP_1)
	v_mul_f64 v[14:15], v[12:13], v[9:10]
	v_fma_f64 v[5:6], -v[5:6], v[14:15], v[12:13]
	s_delay_alu instid0(VALU_DEP_1) | instskip(NEXT) | instid1(VALU_DEP_1)
	v_div_fmas_f64 v[5:6], v[5:6], v[9:10], v[14:15]
	v_div_fixup_f64 v[3:4], v[5:6], v[3:4], 1.0
	ds_load_b64 v[5:6], v1
	v_cmpx_eq_u32_e32 0, v11
	s_cbranch_execz .LBB12_17
; %bb.16:
	s_waitcnt lgkmcnt(0)
	v_mul_f64 v[1:2], v[5:6], v[3:4]
	v_add_co_u32 v9, vcc_lo, s6, v7
	v_add_co_ci_u32_e32 v10, vcc_lo, s7, v8, vcc_lo
	global_store_b64 v[9:10], v[1:2], off
.LBB12_17:
	s_or_b32 exec_lo, exec_lo, s12
	s_and_saveexec_b32 s6, s0
	s_cbranch_execz .LBB12_20
; %bb.18:
	v_add_co_u32 v1, vcc_lo, s16, v7
	v_add_co_ci_u32_e32 v2, vcc_lo, s17, v8, vcc_lo
	s_mov_b32 s6, 0
	global_load_b64 v[7:8], v[1:2], off
	v_mul_f64 v[1:2], v[3:4], v[3:4]
	s_delay_alu instid0(VALU_DEP_1)
	v_mul_f64 v[9:10], v[3:4], v[1:2]
	s_set_inst_prefetch_distance 0x1
	.p2align	6
.LBB12_19:                              ; =>This Inner Loop Header: Depth=1
	v_ashrrev_i32_e32 v1, 31, v0
	v_add_nc_u32_e32 v11, s1, v11
	s_delay_alu instid0(VALU_DEP_2) | instskip(SKIP_1) | instid1(VALU_DEP_2)
	v_lshlrev_b64 v[1:2], 3, v[0:1]
	v_add_nc_u32_e32 v0, s2, v0
	v_add_co_u32 v12, vcc_lo, s10, v1
	s_delay_alu instid0(VALU_DEP_3)
	v_add_co_ci_u32_e32 v13, vcc_lo, s11, v2, vcc_lo
	v_add_co_u32 v14, vcc_lo, s8, v1
	v_add_co_ci_u32_e32 v15, vcc_lo, s9, v2, vcc_lo
	global_load_b64 v[12:13], v[12:13], off
	v_cmp_le_i32_e32 vcc_lo, s3, v11
	v_add_co_u32 v1, s0, s4, v1
	global_load_b64 v[14:15], v[14:15], off
	v_add_co_ci_u32_e64 v2, s0, s5, v2, s0
	s_or_b32 s6, vcc_lo, s6
	s_waitcnt vmcnt(1)
	v_mul_f64 v[12:13], v[9:10], v[12:13]
	s_waitcnt lgkmcnt(0)
	s_delay_alu instid0(VALU_DEP_1) | instskip(SKIP_1) | instid1(VALU_DEP_1)
	v_mul_f64 v[12:13], v[5:6], v[12:13]
	s_waitcnt vmcnt(0)
	v_fma_f64 v[12:13], v[3:4], v[14:15], -v[12:13]
	s_delay_alu instid0(VALU_DEP_1)
	v_mul_f64 v[12:13], v[7:8], v[12:13]
	global_store_b64 v[1:2], v[12:13], off
	s_and_not1_b32 exec_lo, exec_lo, s6
	s_cbranch_execnz .LBB12_19
.LBB12_20:
	s_set_inst_prefetch_distance 0x2
	s_nop 0
	s_sendmsg sendmsg(MSG_DEALLOC_VGPRS)
	s_endpgm
	.p2align	6
.LBB12_21:                              ;   in Loop: Header=BB12_22 Depth=1
	s_or_b32 exec_lo, exec_lo, s15
	s_lshr_b32 s15, s13, 1
	s_cmpk_lt_u32 s13, 0x80
	s_mov_b32 s13, s15
	s_waitcnt lgkmcnt(0)
	s_barrier
	buffer_gl0_inv
	s_cbranch_scc1 .LBB12_7
.LBB12_22:                              ; =>This Inner Loop Header: Depth=1
	s_mov_b32 s15, exec_lo
	v_cmpx_gt_i32_e64 s13, v6
	s_cbranch_execz .LBB12_21
; %bb.23:                               ;   in Loop: Header=BB12_22 Depth=1
	v_lshl_add_u32 v9, s13, 3, v1
	ds_load_b64 v[7:8], v1
	ds_load_b64 v[9:10], v9
	s_waitcnt lgkmcnt(0)
	v_add_f64 v[7:8], v[7:8], v[9:10]
	ds_store_b64 v1, v[7:8]
	s_branch .LBB12_21
	.section	.rodata,"a",@progbits
	.p2align	6, 0x0
	.amdhsa_kernel _ZN2at6native12_GLOBAL__N_131weight_norm_bwd_last_dim_kernelIddEEvPT_S4_PKS3_S6_S6_PKT0_ii
		.amdhsa_group_segment_fixed_size 0
		.amdhsa_private_segment_fixed_size 0
		.amdhsa_kernarg_size 312
		.amdhsa_user_sgpr_count 15
		.amdhsa_user_sgpr_dispatch_ptr 0
		.amdhsa_user_sgpr_queue_ptr 0
		.amdhsa_user_sgpr_kernarg_segment_ptr 1
		.amdhsa_user_sgpr_dispatch_id 0
		.amdhsa_user_sgpr_private_segment_size 0
		.amdhsa_wavefront_size32 1
		.amdhsa_uses_dynamic_stack 0
		.amdhsa_enable_private_segment 0
		.amdhsa_system_sgpr_workgroup_id_x 1
		.amdhsa_system_sgpr_workgroup_id_y 0
		.amdhsa_system_sgpr_workgroup_id_z 0
		.amdhsa_system_sgpr_workgroup_info 0
		.amdhsa_system_vgpr_workitem_id 1
		.amdhsa_next_free_vgpr 16
		.amdhsa_next_free_sgpr 20
		.amdhsa_reserve_vcc 1
		.amdhsa_float_round_mode_32 0
		.amdhsa_float_round_mode_16_64 0
		.amdhsa_float_denorm_mode_32 3
		.amdhsa_float_denorm_mode_16_64 3
		.amdhsa_dx10_clamp 1
		.amdhsa_ieee_mode 1
		.amdhsa_fp16_overflow 0
		.amdhsa_workgroup_processor_mode 1
		.amdhsa_memory_ordered 1
		.amdhsa_forward_progress 0
		.amdhsa_shared_vgpr_count 0
		.amdhsa_exception_fp_ieee_invalid_op 0
		.amdhsa_exception_fp_denorm_src 0
		.amdhsa_exception_fp_ieee_div_zero 0
		.amdhsa_exception_fp_ieee_overflow 0
		.amdhsa_exception_fp_ieee_underflow 0
		.amdhsa_exception_fp_ieee_inexact 0
		.amdhsa_exception_int_div_zero 0
	.end_amdhsa_kernel
	.section	.text._ZN2at6native12_GLOBAL__N_131weight_norm_bwd_last_dim_kernelIddEEvPT_S4_PKS3_S6_S6_PKT0_ii,"axG",@progbits,_ZN2at6native12_GLOBAL__N_131weight_norm_bwd_last_dim_kernelIddEEvPT_S4_PKS3_S6_S6_PKT0_ii,comdat
.Lfunc_end12:
	.size	_ZN2at6native12_GLOBAL__N_131weight_norm_bwd_last_dim_kernelIddEEvPT_S4_PKS3_S6_S6_PKT0_ii, .Lfunc_end12-_ZN2at6native12_GLOBAL__N_131weight_norm_bwd_last_dim_kernelIddEEvPT_S4_PKS3_S6_S6_PKT0_ii
                                        ; -- End function
	.section	.AMDGPU.csdata,"",@progbits
; Kernel info:
; codeLenInByte = 1056
; NumSgprs: 22
; NumVgprs: 16
; ScratchSize: 0
; MemoryBound: 0
; FloatMode: 240
; IeeeMode: 1
; LDSByteSize: 0 bytes/workgroup (compile time only)
; SGPRBlocks: 2
; VGPRBlocks: 1
; NumSGPRsForWavesPerEU: 22
; NumVGPRsForWavesPerEU: 16
; Occupancy: 16
; WaveLimiterHint : 0
; COMPUTE_PGM_RSRC2:SCRATCH_EN: 0
; COMPUTE_PGM_RSRC2:USER_SGPR: 15
; COMPUTE_PGM_RSRC2:TRAP_HANDLER: 0
; COMPUTE_PGM_RSRC2:TGID_X_EN: 1
; COMPUTE_PGM_RSRC2:TGID_Y_EN: 0
; COMPUTE_PGM_RSRC2:TGID_Z_EN: 0
; COMPUTE_PGM_RSRC2:TIDIG_COMP_CNT: 1
	.section	.text._ZN2at6native12_GLOBAL__N_131weight_norm_bwd_last_dim_kernelIffEEvPT_S4_PKS3_S6_S6_PKT0_ii,"axG",@progbits,_ZN2at6native12_GLOBAL__N_131weight_norm_bwd_last_dim_kernelIffEEvPT_S4_PKS3_S6_S6_PKT0_ii,comdat
	.globl	_ZN2at6native12_GLOBAL__N_131weight_norm_bwd_last_dim_kernelIffEEvPT_S4_PKS3_S6_S6_PKT0_ii ; -- Begin function _ZN2at6native12_GLOBAL__N_131weight_norm_bwd_last_dim_kernelIffEEvPT_S4_PKS3_S6_S6_PKT0_ii
	.p2align	8
	.type	_ZN2at6native12_GLOBAL__N_131weight_norm_bwd_last_dim_kernelIffEEvPT_S4_PKS3_S6_S6_PKT0_ii,@function
_ZN2at6native12_GLOBAL__N_131weight_norm_bwd_last_dim_kernelIffEEvPT_S4_PKS3_S6_S6_PKT0_ii: ; @_ZN2at6native12_GLOBAL__N_131weight_norm_bwd_last_dim_kernelIffEEvPT_S4_PKS3_S6_S6_PKT0_ii
; %bb.0:
	s_clause 0x1
	s_load_b32 s13, s[0:1], 0x44
	s_load_b64 s[2:3], s[0:1], 0x30
	v_and_b32_e32 v2, 0x3ff, v0
	s_clause 0x1
	s_load_b128 s[16:19], s[0:1], 0x20
	s_load_b256 s[4:11], s[0:1], 0x0
	v_bfe_u32 v6, v0, 10, 10
	s_waitcnt lgkmcnt(0)
	s_and_b32 s12, s13, 0xffff
	s_delay_alu instid0(VALU_DEP_1) | instskip(SKIP_2) | instid1(VALU_DEP_1)
	v_cmp_gt_i32_e64 s0, s3, v6
	v_mad_u64_u32 v[3:4], null, s15, s12, v[2:3]
	s_lshr_b32 s1, s13, 16
	v_mad_u64_u32 v[0:1], null, v6, s2, v[3:4]
	v_mov_b32_e32 v1, 0
	v_cmp_gt_i32_e32 vcc_lo, s2, v3
	s_mul_i32 s2, s1, s2
	s_and_b32 s0, vcc_lo, s0
	s_delay_alu instid0(SALU_CYCLE_1)
	s_and_saveexec_b32 s13, s0
	s_cbranch_execz .LBB13_4
; %bb.1:
	s_delay_alu instid0(VALU_DEP_3)
	v_dual_mov_b32 v1, 0 :: v_dual_mov_b32 v4, v0
	v_mov_b32_e32 v7, v6
	s_mov_b32 s14, 0
	.p2align	6
.LBB13_2:                               ; =>This Inner Loop Header: Depth=1
	s_delay_alu instid0(VALU_DEP_2) | instskip(NEXT) | instid1(VALU_DEP_2)
	v_ashrrev_i32_e32 v5, 31, v4
	v_add_nc_u32_e32 v7, s1, v7
	s_delay_alu instid0(VALU_DEP_2) | instskip(SKIP_1) | instid1(VALU_DEP_2)
	v_lshlrev_b64 v[8:9], 2, v[4:5]
	v_add_nc_u32_e32 v4, s2, v4
	v_add_co_u32 v10, vcc_lo, s8, v8
	s_delay_alu instid0(VALU_DEP_3)
	v_add_co_ci_u32_e32 v11, vcc_lo, s9, v9, vcc_lo
	v_add_co_u32 v8, vcc_lo, s10, v8
	v_add_co_ci_u32_e32 v9, vcc_lo, s11, v9, vcc_lo
	v_cmp_le_i32_e32 vcc_lo, s3, v7
	global_load_b32 v5, v[10:11], off
	global_load_b32 v8, v[8:9], off
	s_or_b32 s14, vcc_lo, s14
	s_waitcnt vmcnt(0)
	v_fmac_f32_e32 v1, v5, v8
	s_and_not1_b32 exec_lo, exec_lo, s14
	s_cbranch_execnz .LBB13_2
; %bb.3:
	s_or_b32 exec_lo, exec_lo, s14
.LBB13_4:
	s_delay_alu instid0(SALU_CYCLE_1) | instskip(SKIP_2) | instid1(SALU_CYCLE_1)
	s_or_b32 exec_lo, exec_lo, s13
	v_mad_u32_u24 v5, v6, s12, v2
	s_mul_i32 s13, s1, s12
	s_cmp_gt_i32 s13, 63
	s_cselect_b32 s14, -1, 0
	s_delay_alu instid0(VALU_DEP_1)
	v_lshl_add_u32 v4, v5, 2, 0
	s_cmp_lt_i32 s13, 64
	s_cbranch_scc1 .LBB13_6
; %bb.5:
	ds_store_b32 v4, v1
	s_waitcnt lgkmcnt(0)
	s_barrier
	buffer_gl0_inv
.LBB13_6:
	s_ashr_i32 s13, s13, 1
	s_delay_alu instid0(SALU_CYCLE_1)
	s_cmp_lt_i32 s13, 64
	s_cbranch_scc0 .LBB13_22
.LBB13_7:
	s_mov_b32 s13, exec_lo
	v_cmpx_gt_u32_e32 32, v5
	s_cbranch_execz .LBB13_15
; %bb.8:
	s_and_not1_b32 vcc_lo, exec_lo, s14
	s_cbranch_vccnz .LBB13_10
; %bb.9:
	ds_load_2addr_b32 v[7:8], v4 offset1:32
	s_waitcnt lgkmcnt(0)
	v_add_f32_e32 v1, v7, v8
.LBB13_10:
	s_cmp_gt_u32 s12, 16
	s_mov_b32 s14, 16
	s_cbranch_scc1 .LBB13_13
; %bb.11:
	v_mbcnt_lo_u32_b32 v7, -1, 0
.LBB13_12:                              ; =>This Inner Loop Header: Depth=1
	s_delay_alu instid0(VALU_DEP_1) | instskip(NEXT) | instid1(VALU_DEP_1)
	v_add_nc_u32_e32 v8, s14, v7
	v_cmp_gt_u32_e32 vcc_lo, 32, v8
	v_cndmask_b32_e64 v8, 0, s14, vcc_lo
	s_lshr_b32 s14, s14, 1
	s_delay_alu instid0(SALU_CYCLE_1) | instskip(NEXT) | instid1(VALU_DEP_1)
	s_cmp_lt_u32 s14, s12
	v_add_lshl_u32 v8, v8, v7, 2
	ds_bpermute_b32 v8, v8, v1
	s_waitcnt lgkmcnt(0)
	v_add_f32_e32 v1, v1, v8
	s_cbranch_scc0 .LBB13_12
.LBB13_13:
	v_cmp_gt_u32_e32 vcc_lo, s12, v5
	s_and_b32 exec_lo, exec_lo, vcc_lo
	s_cbranch_execz .LBB13_15
; %bb.14:
	ds_store_b32 v4, v1
.LBB13_15:
	s_or_b32 exec_lo, exec_lo, s13
	v_ashrrev_i32_e32 v4, 31, v3
	s_waitcnt lgkmcnt(0)
	s_barrier
	buffer_gl0_inv
	v_lshl_add_u32 v2, v2, 2, 0
	v_lshlrev_b64 v[3:4], 2, v[3:4]
	s_mov_b32 s12, exec_lo
	ds_load_b32 v2, v2
	v_add_co_u32 v7, vcc_lo, s18, v3
	v_add_co_ci_u32_e32 v8, vcc_lo, s19, v4, vcc_lo
	global_load_b32 v1, v[7:8], off
	s_waitcnt vmcnt(0)
	v_div_scale_f32 v5, null, v1, v1, 1.0
	v_div_scale_f32 v9, vcc_lo, 1.0, v1, 1.0
	s_delay_alu instid0(VALU_DEP_2) | instskip(SKIP_2) | instid1(VALU_DEP_1)
	v_rcp_f32_e32 v7, v5
	s_waitcnt_depctr 0xfff
	v_fma_f32 v8, -v5, v7, 1.0
	v_fmac_f32_e32 v7, v8, v7
	s_delay_alu instid0(VALU_DEP_1) | instskip(NEXT) | instid1(VALU_DEP_1)
	v_mul_f32_e32 v8, v9, v7
	v_fma_f32 v10, -v5, v8, v9
	s_delay_alu instid0(VALU_DEP_1) | instskip(NEXT) | instid1(VALU_DEP_1)
	v_fmac_f32_e32 v8, v10, v7
	v_fma_f32 v5, -v5, v8, v9
	s_delay_alu instid0(VALU_DEP_1) | instskip(NEXT) | instid1(VALU_DEP_1)
	v_div_fmas_f32 v5, v5, v7, v8
	v_div_fixup_f32 v5, v5, v1, 1.0
	v_cmpx_eq_u32_e32 0, v6
	s_cbranch_execz .LBB13_17
; %bb.16:
	v_add_co_u32 v7, vcc_lo, s6, v3
	v_add_co_ci_u32_e32 v8, vcc_lo, s7, v4, vcc_lo
	s_waitcnt lgkmcnt(0)
	v_mul_f32_e32 v1, v2, v5
	global_store_b32 v[7:8], v1, off
.LBB13_17:
	s_or_b32 exec_lo, exec_lo, s12
	s_and_saveexec_b32 s6, s0
	s_cbranch_execz .LBB13_20
; %bb.18:
	v_add_co_u32 v3, vcc_lo, s16, v3
	v_add_co_ci_u32_e32 v4, vcc_lo, s17, v4, vcc_lo
	v_mul_f32_e32 v1, v5, v5
	s_mov_b32 s6, 0
	global_load_b32 v3, v[3:4], off
	v_mul_f32_e32 v4, v5, v1
	.p2align	6
.LBB13_19:                              ; =>This Inner Loop Header: Depth=1
	v_ashrrev_i32_e32 v1, 31, v0
	v_add_nc_u32_e32 v6, s1, v6
	s_delay_alu instid0(VALU_DEP_2) | instskip(SKIP_1) | instid1(VALU_DEP_2)
	v_lshlrev_b64 v[7:8], 2, v[0:1]
	v_add_nc_u32_e32 v0, s2, v0
	v_add_co_u32 v9, vcc_lo, s10, v7
	s_delay_alu instid0(VALU_DEP_3)
	v_add_co_ci_u32_e32 v10, vcc_lo, s11, v8, vcc_lo
	global_load_b32 v1, v[9:10], off
	v_add_co_u32 v9, vcc_lo, s8, v7
	v_add_co_ci_u32_e32 v10, vcc_lo, s9, v8, vcc_lo
	v_cmp_le_i32_e32 vcc_lo, s3, v6
	v_add_co_u32 v7, s0, s4, v7
	global_load_b32 v9, v[9:10], off
	v_add_co_ci_u32_e64 v8, s0, s5, v8, s0
	s_or_b32 s6, vcc_lo, s6
	s_waitcnt vmcnt(1)
	v_mul_f32_e32 v1, v4, v1
	s_waitcnt lgkmcnt(0)
	s_delay_alu instid0(VALU_DEP_1) | instskip(SKIP_1) | instid1(VALU_DEP_1)
	v_mul_f32_e32 v1, v2, v1
	s_waitcnt vmcnt(0)
	v_fma_f32 v1, v5, v9, -v1
	s_delay_alu instid0(VALU_DEP_1)
	v_mul_f32_e32 v1, v3, v1
	global_store_b32 v[7:8], v1, off
	s_and_not1_b32 exec_lo, exec_lo, s6
	s_cbranch_execnz .LBB13_19
.LBB13_20:
	s_nop 0
	s_sendmsg sendmsg(MSG_DEALLOC_VGPRS)
	s_endpgm
	.p2align	6
.LBB13_21:                              ;   in Loop: Header=BB13_22 Depth=1
	s_or_b32 exec_lo, exec_lo, s15
	s_lshr_b32 s15, s13, 1
	s_cmpk_lt_u32 s13, 0x80
	s_mov_b32 s13, s15
	s_waitcnt lgkmcnt(0)
	s_barrier
	buffer_gl0_inv
	s_cbranch_scc1 .LBB13_7
.LBB13_22:                              ; =>This Inner Loop Header: Depth=1
	s_mov_b32 s15, exec_lo
	v_cmpx_gt_i32_e64 s13, v5
	s_cbranch_execz .LBB13_21
; %bb.23:                               ;   in Loop: Header=BB13_22 Depth=1
	v_lshl_add_u32 v7, s13, 2, v4
	ds_load_b32 v8, v4
	ds_load_b32 v7, v7
	s_waitcnt lgkmcnt(0)
	v_add_f32_e32 v7, v8, v7
	ds_store_b32 v4, v7
	s_branch .LBB13_21
	.section	.rodata,"a",@progbits
	.p2align	6, 0x0
	.amdhsa_kernel _ZN2at6native12_GLOBAL__N_131weight_norm_bwd_last_dim_kernelIffEEvPT_S4_PKS3_S6_S6_PKT0_ii
		.amdhsa_group_segment_fixed_size 0
		.amdhsa_private_segment_fixed_size 0
		.amdhsa_kernarg_size 312
		.amdhsa_user_sgpr_count 15
		.amdhsa_user_sgpr_dispatch_ptr 0
		.amdhsa_user_sgpr_queue_ptr 0
		.amdhsa_user_sgpr_kernarg_segment_ptr 1
		.amdhsa_user_sgpr_dispatch_id 0
		.amdhsa_user_sgpr_private_segment_size 0
		.amdhsa_wavefront_size32 1
		.amdhsa_uses_dynamic_stack 0
		.amdhsa_enable_private_segment 0
		.amdhsa_system_sgpr_workgroup_id_x 1
		.amdhsa_system_sgpr_workgroup_id_y 0
		.amdhsa_system_sgpr_workgroup_id_z 0
		.amdhsa_system_sgpr_workgroup_info 0
		.amdhsa_system_vgpr_workitem_id 1
		.amdhsa_next_free_vgpr 12
		.amdhsa_next_free_sgpr 20
		.amdhsa_reserve_vcc 1
		.amdhsa_float_round_mode_32 0
		.amdhsa_float_round_mode_16_64 0
		.amdhsa_float_denorm_mode_32 3
		.amdhsa_float_denorm_mode_16_64 3
		.amdhsa_dx10_clamp 1
		.amdhsa_ieee_mode 1
		.amdhsa_fp16_overflow 0
		.amdhsa_workgroup_processor_mode 1
		.amdhsa_memory_ordered 1
		.amdhsa_forward_progress 0
		.amdhsa_shared_vgpr_count 0
		.amdhsa_exception_fp_ieee_invalid_op 0
		.amdhsa_exception_fp_denorm_src 0
		.amdhsa_exception_fp_ieee_div_zero 0
		.amdhsa_exception_fp_ieee_overflow 0
		.amdhsa_exception_fp_ieee_underflow 0
		.amdhsa_exception_fp_ieee_inexact 0
		.amdhsa_exception_int_div_zero 0
	.end_amdhsa_kernel
	.section	.text._ZN2at6native12_GLOBAL__N_131weight_norm_bwd_last_dim_kernelIffEEvPT_S4_PKS3_S6_S6_PKT0_ii,"axG",@progbits,_ZN2at6native12_GLOBAL__N_131weight_norm_bwd_last_dim_kernelIffEEvPT_S4_PKS3_S6_S6_PKT0_ii,comdat
.Lfunc_end13:
	.size	_ZN2at6native12_GLOBAL__N_131weight_norm_bwd_last_dim_kernelIffEEvPT_S4_PKS3_S6_S6_PKT0_ii, .Lfunc_end13-_ZN2at6native12_GLOBAL__N_131weight_norm_bwd_last_dim_kernelIffEEvPT_S4_PKS3_S6_S6_PKT0_ii
                                        ; -- End function
	.section	.AMDGPU.csdata,"",@progbits
; Kernel info:
; codeLenInByte = 976
; NumSgprs: 22
; NumVgprs: 12
; ScratchSize: 0
; MemoryBound: 0
; FloatMode: 240
; IeeeMode: 1
; LDSByteSize: 0 bytes/workgroup (compile time only)
; SGPRBlocks: 2
; VGPRBlocks: 1
; NumSGPRsForWavesPerEU: 22
; NumVGPRsForWavesPerEU: 12
; Occupancy: 16
; WaveLimiterHint : 0
; COMPUTE_PGM_RSRC2:SCRATCH_EN: 0
; COMPUTE_PGM_RSRC2:USER_SGPR: 15
; COMPUTE_PGM_RSRC2:TRAP_HANDLER: 0
; COMPUTE_PGM_RSRC2:TGID_X_EN: 1
; COMPUTE_PGM_RSRC2:TGID_Y_EN: 0
; COMPUTE_PGM_RSRC2:TGID_Z_EN: 0
; COMPUTE_PGM_RSRC2:TIDIG_COMP_CNT: 1
	.section	.text._ZN2at6native12_GLOBAL__N_131weight_norm_bwd_last_dim_kernelIN3c108BFloat16EfEEvPT_S6_PKS5_S8_S8_PKT0_ii,"axG",@progbits,_ZN2at6native12_GLOBAL__N_131weight_norm_bwd_last_dim_kernelIN3c108BFloat16EfEEvPT_S6_PKS5_S8_S8_PKT0_ii,comdat
	.globl	_ZN2at6native12_GLOBAL__N_131weight_norm_bwd_last_dim_kernelIN3c108BFloat16EfEEvPT_S6_PKS5_S8_S8_PKT0_ii ; -- Begin function _ZN2at6native12_GLOBAL__N_131weight_norm_bwd_last_dim_kernelIN3c108BFloat16EfEEvPT_S6_PKS5_S8_S8_PKT0_ii
	.p2align	8
	.type	_ZN2at6native12_GLOBAL__N_131weight_norm_bwd_last_dim_kernelIN3c108BFloat16EfEEvPT_S6_PKS5_S8_S8_PKT0_ii,@function
_ZN2at6native12_GLOBAL__N_131weight_norm_bwd_last_dim_kernelIN3c108BFloat16EfEEvPT_S6_PKS5_S8_S8_PKT0_ii: ; @_ZN2at6native12_GLOBAL__N_131weight_norm_bwd_last_dim_kernelIN3c108BFloat16EfEEvPT_S6_PKS5_S8_S8_PKT0_ii
; %bb.0:
	s_clause 0x1
	s_load_b32 s13, s[0:1], 0x44
	s_load_b64 s[2:3], s[0:1], 0x30
	v_and_b32_e32 v4, 0x3ff, v0
	s_clause 0x1
	s_load_b128 s[16:19], s[0:1], 0x20
	s_load_b256 s[4:11], s[0:1], 0x0
	v_bfe_u32 v7, v0, 10, 10
	s_waitcnt lgkmcnt(0)
	s_and_b32 s12, s13, 0xffff
	s_delay_alu instid0(VALU_DEP_1) | instskip(SKIP_2) | instid1(VALU_DEP_1)
	v_cmp_gt_i32_e64 s0, s3, v7
	v_mad_u64_u32 v[2:3], null, s15, s12, v[4:5]
	s_lshr_b32 s1, s13, 16
	v_mad_u64_u32 v[0:1], null, v7, s2, v[2:3]
	v_mov_b32_e32 v1, 0
	v_cmp_gt_i32_e32 vcc_lo, s2, v2
	s_mul_i32 s2, s1, s2
	s_and_b32 s0, vcc_lo, s0
	s_delay_alu instid0(SALU_CYCLE_1)
	s_and_saveexec_b32 s13, s0
	s_cbranch_execz .LBB14_4
; %bb.1:
	v_mov_b32_e32 v1, 0
	v_mov_b32_e32 v5, v0
	;; [unrolled: 1-line block ×3, first 2 shown]
	s_mov_b32 s14, 0
	.p2align	6
.LBB14_2:                               ; =>This Inner Loop Header: Depth=1
	s_delay_alu instid0(VALU_DEP_2) | instskip(NEXT) | instid1(VALU_DEP_2)
	v_ashrrev_i32_e32 v6, 31, v5
	v_add_nc_u32_e32 v3, s1, v3
	s_delay_alu instid0(VALU_DEP_2) | instskip(SKIP_1) | instid1(VALU_DEP_2)
	v_lshlrev_b64 v[8:9], 1, v[5:6]
	v_add_nc_u32_e32 v5, s2, v5
	v_add_co_u32 v10, vcc_lo, s10, v8
	s_delay_alu instid0(VALU_DEP_3)
	v_add_co_ci_u32_e32 v11, vcc_lo, s11, v9, vcc_lo
	v_add_co_u32 v8, vcc_lo, s8, v8
	v_add_co_ci_u32_e32 v9, vcc_lo, s9, v9, vcc_lo
	v_cmp_le_i32_e32 vcc_lo, s3, v3
	global_load_u16 v6, v[10:11], off
	global_load_u16 v8, v[8:9], off
	s_or_b32 s14, vcc_lo, s14
	s_waitcnt vmcnt(1)
	v_lshlrev_b32_e32 v6, 16, v6
	s_waitcnt vmcnt(0)
	v_lshlrev_b32_e32 v8, 16, v8
	s_delay_alu instid0(VALU_DEP_1)
	v_fmac_f32_e32 v1, v8, v6
	s_and_not1_b32 exec_lo, exec_lo, s14
	s_cbranch_execnz .LBB14_2
; %bb.3:
	s_or_b32 exec_lo, exec_lo, s14
.LBB14_4:
	s_delay_alu instid0(SALU_CYCLE_1) | instskip(SKIP_2) | instid1(SALU_CYCLE_1)
	s_or_b32 exec_lo, exec_lo, s13
	v_mad_u32_u24 v5, v7, s12, v4
	s_mul_i32 s13, s1, s12
	s_cmp_gt_i32 s13, 63
	s_cselect_b32 s14, -1, 0
	s_delay_alu instid0(VALU_DEP_1)
	v_lshl_add_u32 v3, v5, 2, 0
	s_cmp_lt_i32 s13, 64
	s_cbranch_scc1 .LBB14_6
; %bb.5:
	ds_store_b32 v3, v1
	s_waitcnt lgkmcnt(0)
	s_barrier
	buffer_gl0_inv
.LBB14_6:
	s_ashr_i32 s13, s13, 1
	s_delay_alu instid0(SALU_CYCLE_1)
	s_cmp_lt_i32 s13, 64
	s_cbranch_scc0 .LBB14_22
.LBB14_7:
	s_mov_b32 s13, exec_lo
	v_cmpx_gt_u32_e32 32, v5
	s_cbranch_execz .LBB14_15
; %bb.8:
	s_and_not1_b32 vcc_lo, exec_lo, s14
	s_cbranch_vccnz .LBB14_10
; %bb.9:
	ds_load_2addr_b32 v[8:9], v3 offset1:32
	s_waitcnt lgkmcnt(0)
	v_add_f32_e32 v1, v8, v9
.LBB14_10:
	s_cmp_gt_u32 s12, 16
	s_mov_b32 s14, 16
	s_cbranch_scc1 .LBB14_13
; %bb.11:
	v_mbcnt_lo_u32_b32 v6, -1, 0
.LBB14_12:                              ; =>This Inner Loop Header: Depth=1
	s_delay_alu instid0(VALU_DEP_1) | instskip(NEXT) | instid1(VALU_DEP_1)
	v_add_nc_u32_e32 v8, s14, v6
	v_cmp_gt_u32_e32 vcc_lo, 32, v8
	v_cndmask_b32_e64 v8, 0, s14, vcc_lo
	s_lshr_b32 s14, s14, 1
	s_delay_alu instid0(SALU_CYCLE_1) | instskip(NEXT) | instid1(VALU_DEP_1)
	s_cmp_lt_u32 s14, s12
	v_add_lshl_u32 v8, v8, v6, 2
	ds_bpermute_b32 v8, v8, v1
	s_waitcnt lgkmcnt(0)
	v_add_f32_e32 v1, v1, v8
	s_cbranch_scc0 .LBB14_12
.LBB14_13:
	v_cmp_gt_u32_e32 vcc_lo, s12, v5
	s_and_b32 exec_lo, exec_lo, vcc_lo
	s_cbranch_execz .LBB14_15
; %bb.14:
	ds_store_b32 v3, v1
.LBB14_15:
	s_or_b32 exec_lo, exec_lo, s13
	v_ashrrev_i32_e32 v3, 31, v2
	s_waitcnt lgkmcnt(0)
	s_barrier
	buffer_gl0_inv
	v_lshl_add_u32 v4, v4, 2, 0
	v_lshlrev_b64 v[5:6], 2, v[2:3]
	s_mov_b32 s12, exec_lo
	ds_load_b32 v4, v4
	v_add_co_u32 v5, vcc_lo, s18, v5
	v_add_co_ci_u32_e32 v6, vcc_lo, s19, v6, vcc_lo
	global_load_b32 v5, v[5:6], off
	s_waitcnt vmcnt(0)
	v_div_scale_f32 v1, null, v5, v5, 1.0
	v_div_scale_f32 v9, vcc_lo, 1.0, v5, 1.0
	s_delay_alu instid0(VALU_DEP_2) | instskip(SKIP_2) | instid1(VALU_DEP_1)
	v_rcp_f32_e32 v6, v1
	s_waitcnt_depctr 0xfff
	v_fma_f32 v8, -v1, v6, 1.0
	v_fmac_f32_e32 v6, v8, v6
	s_delay_alu instid0(VALU_DEP_1) | instskip(NEXT) | instid1(VALU_DEP_1)
	v_mul_f32_e32 v8, v9, v6
	v_fma_f32 v10, -v1, v8, v9
	s_delay_alu instid0(VALU_DEP_1) | instskip(NEXT) | instid1(VALU_DEP_1)
	v_fmac_f32_e32 v8, v10, v6
	v_fma_f32 v1, -v1, v8, v9
	s_delay_alu instid0(VALU_DEP_1) | instskip(SKIP_1) | instid1(VALU_DEP_2)
	v_div_fmas_f32 v6, v1, v6, v8
	v_lshlrev_b64 v[1:2], 1, v[2:3]
	v_div_fixup_f32 v3, v6, v5, 1.0
	v_cmpx_eq_u32_e32 0, v7
	s_cbranch_execz .LBB14_17
; %bb.16:
	s_waitcnt lgkmcnt(0)
	s_delay_alu instid0(VALU_DEP_2) | instskip(NEXT) | instid1(VALU_DEP_1)
	v_mul_f32_e32 v5, v4, v3
	v_bfe_u32 v6, v5, 16, 1
	v_cmp_o_f32_e32 vcc_lo, v5, v5
	s_delay_alu instid0(VALU_DEP_2) | instskip(NEXT) | instid1(VALU_DEP_1)
	v_add3_u32 v6, v5, v6, 0x7fff
	v_lshrrev_b32_e32 v6, 16, v6
	s_delay_alu instid0(VALU_DEP_1)
	v_cndmask_b32_e32 v8, 0x7fc0, v6, vcc_lo
	v_add_co_u32 v5, vcc_lo, s6, v1
	v_add_co_ci_u32_e32 v6, vcc_lo, s7, v2, vcc_lo
	global_store_b16 v[5:6], v8, off
.LBB14_17:
	s_or_b32 exec_lo, exec_lo, s12
	s_and_saveexec_b32 s6, s0
	s_cbranch_execz .LBB14_20
; %bb.18:
	v_add_co_u32 v1, vcc_lo, s16, v1
	v_add_co_ci_u32_e32 v2, vcc_lo, s17, v2, vcc_lo
	s_mov_b32 s6, 0
	global_load_u16 v1, v[1:2], off
	s_waitcnt vmcnt(0)
	v_dual_mul_f32 v5, v3, v3 :: v_dual_lshlrev_b32 v2, 16, v1
	s_delay_alu instid0(VALU_DEP_1)
	v_mul_f32_e32 v5, v3, v5
	s_set_inst_prefetch_distance 0x1
	.p2align	6
.LBB14_19:                              ; =>This Inner Loop Header: Depth=1
	v_ashrrev_i32_e32 v1, 31, v0
	v_add_nc_u32_e32 v7, s1, v7
	s_delay_alu instid0(VALU_DEP_2) | instskip(SKIP_1) | instid1(VALU_DEP_2)
	v_lshlrev_b64 v[8:9], 1, v[0:1]
	v_add_nc_u32_e32 v0, s2, v0
	v_add_co_u32 v10, vcc_lo, s10, v8
	s_delay_alu instid0(VALU_DEP_3)
	v_add_co_ci_u32_e32 v11, vcc_lo, s11, v9, vcc_lo
	global_load_u16 v1, v[10:11], off
	v_add_co_u32 v10, vcc_lo, s8, v8
	v_add_co_ci_u32_e32 v11, vcc_lo, s9, v9, vcc_lo
	v_cmp_le_i32_e32 vcc_lo, s3, v7
	global_load_u16 v6, v[10:11], off
	s_or_b32 s6, vcc_lo, s6
	s_waitcnt vmcnt(1)
	v_lshlrev_b32_e32 v1, 16, v1
	s_waitcnt vmcnt(0)
	s_delay_alu instid0(VALU_DEP_1) | instskip(SKIP_1) | instid1(VALU_DEP_1)
	v_dual_mul_f32 v1, v5, v1 :: v_dual_lshlrev_b32 v6, 16, v6
	s_waitcnt lgkmcnt(0)
	v_mul_f32_e32 v1, v4, v1
	s_delay_alu instid0(VALU_DEP_1) | instskip(NEXT) | instid1(VALU_DEP_1)
	v_fma_f32 v1, v3, v6, -v1
	v_mul_f32_e32 v1, v1, v2
	s_delay_alu instid0(VALU_DEP_1) | instskip(SKIP_1) | instid1(VALU_DEP_2)
	v_bfe_u32 v6, v1, 16, 1
	v_cmp_o_f32_e64 s0, v1, v1
	v_add3_u32 v6, v1, v6, 0x7fff
	s_delay_alu instid0(VALU_DEP_1) | instskip(NEXT) | instid1(VALU_DEP_1)
	v_lshrrev_b32_e32 v6, 16, v6
	v_cndmask_b32_e64 v1, 0x7fc0, v6, s0
	v_add_co_u32 v8, s0, s4, v8
	s_delay_alu instid0(VALU_DEP_1)
	v_add_co_ci_u32_e64 v9, s0, s5, v9, s0
	global_store_b16 v[8:9], v1, off
	s_and_not1_b32 exec_lo, exec_lo, s6
	s_cbranch_execnz .LBB14_19
.LBB14_20:
	s_set_inst_prefetch_distance 0x2
	s_nop 0
	s_sendmsg sendmsg(MSG_DEALLOC_VGPRS)
	s_endpgm
	.p2align	6
.LBB14_21:                              ;   in Loop: Header=BB14_22 Depth=1
	s_or_b32 exec_lo, exec_lo, s15
	s_lshr_b32 s15, s13, 1
	s_cmpk_lt_u32 s13, 0x80
	s_mov_b32 s13, s15
	s_waitcnt lgkmcnt(0)
	s_barrier
	buffer_gl0_inv
	s_cbranch_scc1 .LBB14_7
.LBB14_22:                              ; =>This Inner Loop Header: Depth=1
	s_mov_b32 s15, exec_lo
	v_cmpx_gt_i32_e64 s13, v5
	s_cbranch_execz .LBB14_21
; %bb.23:                               ;   in Loop: Header=BB14_22 Depth=1
	v_lshl_add_u32 v6, s13, 2, v3
	ds_load_b32 v8, v3
	ds_load_b32 v6, v6
	s_waitcnt lgkmcnt(0)
	v_add_f32_e32 v6, v8, v6
	ds_store_b32 v3, v6
	s_branch .LBB14_21
	.section	.rodata,"a",@progbits
	.p2align	6, 0x0
	.amdhsa_kernel _ZN2at6native12_GLOBAL__N_131weight_norm_bwd_last_dim_kernelIN3c108BFloat16EfEEvPT_S6_PKS5_S8_S8_PKT0_ii
		.amdhsa_group_segment_fixed_size 0
		.amdhsa_private_segment_fixed_size 0
		.amdhsa_kernarg_size 312
		.amdhsa_user_sgpr_count 15
		.amdhsa_user_sgpr_dispatch_ptr 0
		.amdhsa_user_sgpr_queue_ptr 0
		.amdhsa_user_sgpr_kernarg_segment_ptr 1
		.amdhsa_user_sgpr_dispatch_id 0
		.amdhsa_user_sgpr_private_segment_size 0
		.amdhsa_wavefront_size32 1
		.amdhsa_uses_dynamic_stack 0
		.amdhsa_enable_private_segment 0
		.amdhsa_system_sgpr_workgroup_id_x 1
		.amdhsa_system_sgpr_workgroup_id_y 0
		.amdhsa_system_sgpr_workgroup_id_z 0
		.amdhsa_system_sgpr_workgroup_info 0
		.amdhsa_system_vgpr_workitem_id 1
		.amdhsa_next_free_vgpr 12
		.amdhsa_next_free_sgpr 20
		.amdhsa_reserve_vcc 1
		.amdhsa_float_round_mode_32 0
		.amdhsa_float_round_mode_16_64 0
		.amdhsa_float_denorm_mode_32 3
		.amdhsa_float_denorm_mode_16_64 3
		.amdhsa_dx10_clamp 1
		.amdhsa_ieee_mode 1
		.amdhsa_fp16_overflow 0
		.amdhsa_workgroup_processor_mode 1
		.amdhsa_memory_ordered 1
		.amdhsa_forward_progress 0
		.amdhsa_shared_vgpr_count 0
		.amdhsa_exception_fp_ieee_invalid_op 0
		.amdhsa_exception_fp_denorm_src 0
		.amdhsa_exception_fp_ieee_div_zero 0
		.amdhsa_exception_fp_ieee_overflow 0
		.amdhsa_exception_fp_ieee_underflow 0
		.amdhsa_exception_fp_ieee_inexact 0
		.amdhsa_exception_int_div_zero 0
	.end_amdhsa_kernel
	.section	.text._ZN2at6native12_GLOBAL__N_131weight_norm_bwd_last_dim_kernelIN3c108BFloat16EfEEvPT_S6_PKS5_S8_S8_PKT0_ii,"axG",@progbits,_ZN2at6native12_GLOBAL__N_131weight_norm_bwd_last_dim_kernelIN3c108BFloat16EfEEvPT_S6_PKS5_S8_S8_PKT0_ii,comdat
.Lfunc_end14:
	.size	_ZN2at6native12_GLOBAL__N_131weight_norm_bwd_last_dim_kernelIN3c108BFloat16EfEEvPT_S6_PKS5_S8_S8_PKT0_ii, .Lfunc_end14-_ZN2at6native12_GLOBAL__N_131weight_norm_bwd_last_dim_kernelIN3c108BFloat16EfEEvPT_S6_PKS5_S8_S8_PKT0_ii
                                        ; -- End function
	.section	.AMDGPU.csdata,"",@progbits
; Kernel info:
; codeLenInByte = 1128
; NumSgprs: 22
; NumVgprs: 12
; ScratchSize: 0
; MemoryBound: 0
; FloatMode: 240
; IeeeMode: 1
; LDSByteSize: 0 bytes/workgroup (compile time only)
; SGPRBlocks: 2
; VGPRBlocks: 1
; NumSGPRsForWavesPerEU: 22
; NumVGPRsForWavesPerEU: 12
; Occupancy: 16
; WaveLimiterHint : 0
; COMPUTE_PGM_RSRC2:SCRATCH_EN: 0
; COMPUTE_PGM_RSRC2:USER_SGPR: 15
; COMPUTE_PGM_RSRC2:TRAP_HANDLER: 0
; COMPUTE_PGM_RSRC2:TGID_X_EN: 1
; COMPUTE_PGM_RSRC2:TGID_Y_EN: 0
; COMPUTE_PGM_RSRC2:TGID_Z_EN: 0
; COMPUTE_PGM_RSRC2:TIDIG_COMP_CNT: 1
	.section	.text._ZN2at6native12_GLOBAL__N_131weight_norm_bwd_last_dim_kernelIN3c104HalfEfEEvPT_S6_PKS5_S8_S8_PKT0_ii,"axG",@progbits,_ZN2at6native12_GLOBAL__N_131weight_norm_bwd_last_dim_kernelIN3c104HalfEfEEvPT_S6_PKS5_S8_S8_PKT0_ii,comdat
	.globl	_ZN2at6native12_GLOBAL__N_131weight_norm_bwd_last_dim_kernelIN3c104HalfEfEEvPT_S6_PKS5_S8_S8_PKT0_ii ; -- Begin function _ZN2at6native12_GLOBAL__N_131weight_norm_bwd_last_dim_kernelIN3c104HalfEfEEvPT_S6_PKS5_S8_S8_PKT0_ii
	.p2align	8
	.type	_ZN2at6native12_GLOBAL__N_131weight_norm_bwd_last_dim_kernelIN3c104HalfEfEEvPT_S6_PKS5_S8_S8_PKT0_ii,@function
_ZN2at6native12_GLOBAL__N_131weight_norm_bwd_last_dim_kernelIN3c104HalfEfEEvPT_S6_PKS5_S8_S8_PKT0_ii: ; @_ZN2at6native12_GLOBAL__N_131weight_norm_bwd_last_dim_kernelIN3c104HalfEfEEvPT_S6_PKS5_S8_S8_PKT0_ii
; %bb.0:
	s_clause 0x1
	s_load_b32 s13, s[0:1], 0x44
	s_load_b64 s[2:3], s[0:1], 0x30
	v_and_b32_e32 v4, 0x3ff, v0
	s_clause 0x1
	s_load_b128 s[16:19], s[0:1], 0x20
	s_load_b256 s[4:11], s[0:1], 0x0
	v_bfe_u32 v7, v0, 10, 10
	s_waitcnt lgkmcnt(0)
	s_and_b32 s12, s13, 0xffff
	s_delay_alu instid0(VALU_DEP_1) | instskip(SKIP_2) | instid1(VALU_DEP_1)
	v_cmp_gt_i32_e64 s0, s3, v7
	v_mad_u64_u32 v[2:3], null, s15, s12, v[4:5]
	s_lshr_b32 s1, s13, 16
	v_mad_u64_u32 v[0:1], null, v7, s2, v[2:3]
	v_mov_b32_e32 v1, 0
	v_cmp_gt_i32_e32 vcc_lo, s2, v2
	s_mul_i32 s2, s1, s2
	s_and_b32 s0, vcc_lo, s0
	s_delay_alu instid0(SALU_CYCLE_1)
	s_and_saveexec_b32 s13, s0
	s_cbranch_execz .LBB15_4
; %bb.1:
	v_mov_b32_e32 v1, 0
	v_mov_b32_e32 v5, v0
	;; [unrolled: 1-line block ×3, first 2 shown]
	s_mov_b32 s14, 0
	.p2align	6
.LBB15_2:                               ; =>This Inner Loop Header: Depth=1
	s_delay_alu instid0(VALU_DEP_2) | instskip(NEXT) | instid1(VALU_DEP_2)
	v_ashrrev_i32_e32 v6, 31, v5
	v_add_nc_u32_e32 v3, s1, v3
	s_delay_alu instid0(VALU_DEP_2) | instskip(SKIP_1) | instid1(VALU_DEP_2)
	v_lshlrev_b64 v[8:9], 1, v[5:6]
	v_add_nc_u32_e32 v5, s2, v5
	v_add_co_u32 v10, vcc_lo, s8, v8
	s_delay_alu instid0(VALU_DEP_3)
	v_add_co_ci_u32_e32 v11, vcc_lo, s9, v9, vcc_lo
	v_add_co_u32 v8, vcc_lo, s10, v8
	v_add_co_ci_u32_e32 v9, vcc_lo, s11, v9, vcc_lo
	v_cmp_le_i32_e32 vcc_lo, s3, v3
	global_load_u16 v6, v[10:11], off
	global_load_u16 v8, v[8:9], off
	s_or_b32 s14, vcc_lo, s14
	s_waitcnt vmcnt(0)
	v_fma_mix_f32 v1, v6, v8, v1 op_sel_hi:[1,1,0]
	s_and_not1_b32 exec_lo, exec_lo, s14
	s_cbranch_execnz .LBB15_2
; %bb.3:
	s_or_b32 exec_lo, exec_lo, s14
.LBB15_4:
	s_delay_alu instid0(SALU_CYCLE_1) | instskip(SKIP_2) | instid1(SALU_CYCLE_1)
	s_or_b32 exec_lo, exec_lo, s13
	v_mad_u32_u24 v5, v7, s12, v4
	s_mul_i32 s13, s1, s12
	s_cmp_gt_i32 s13, 63
	s_cselect_b32 s14, -1, 0
	s_delay_alu instid0(VALU_DEP_1)
	v_lshl_add_u32 v3, v5, 2, 0
	s_cmp_lt_i32 s13, 64
	s_cbranch_scc1 .LBB15_6
; %bb.5:
	ds_store_b32 v3, v1
	s_waitcnt lgkmcnt(0)
	s_barrier
	buffer_gl0_inv
.LBB15_6:
	s_ashr_i32 s13, s13, 1
	s_delay_alu instid0(SALU_CYCLE_1)
	s_cmp_lt_i32 s13, 64
	s_cbranch_scc0 .LBB15_22
.LBB15_7:
	s_mov_b32 s13, exec_lo
	v_cmpx_gt_u32_e32 32, v5
	s_cbranch_execz .LBB15_15
; %bb.8:
	s_and_not1_b32 vcc_lo, exec_lo, s14
	s_cbranch_vccnz .LBB15_10
; %bb.9:
	ds_load_2addr_b32 v[8:9], v3 offset1:32
	s_waitcnt lgkmcnt(0)
	v_add_f32_e32 v1, v8, v9
.LBB15_10:
	s_cmp_gt_u32 s12, 16
	s_mov_b32 s14, 16
	s_cbranch_scc1 .LBB15_13
; %bb.11:
	v_mbcnt_lo_u32_b32 v6, -1, 0
.LBB15_12:                              ; =>This Inner Loop Header: Depth=1
	s_delay_alu instid0(VALU_DEP_1) | instskip(NEXT) | instid1(VALU_DEP_1)
	v_add_nc_u32_e32 v8, s14, v6
	v_cmp_gt_u32_e32 vcc_lo, 32, v8
	v_cndmask_b32_e64 v8, 0, s14, vcc_lo
	s_lshr_b32 s14, s14, 1
	s_delay_alu instid0(SALU_CYCLE_1) | instskip(NEXT) | instid1(VALU_DEP_1)
	s_cmp_lt_u32 s14, s12
	v_add_lshl_u32 v8, v8, v6, 2
	ds_bpermute_b32 v8, v8, v1
	s_waitcnt lgkmcnt(0)
	v_add_f32_e32 v1, v1, v8
	s_cbranch_scc0 .LBB15_12
.LBB15_13:
	v_cmp_gt_u32_e32 vcc_lo, s12, v5
	s_and_b32 exec_lo, exec_lo, vcc_lo
	s_cbranch_execz .LBB15_15
; %bb.14:
	ds_store_b32 v3, v1
.LBB15_15:
	s_or_b32 exec_lo, exec_lo, s13
	v_ashrrev_i32_e32 v3, 31, v2
	s_waitcnt lgkmcnt(0)
	s_barrier
	buffer_gl0_inv
	v_lshl_add_u32 v4, v4, 2, 0
	v_lshlrev_b64 v[5:6], 2, v[2:3]
	s_mov_b32 s12, exec_lo
	ds_load_b32 v4, v4
	v_add_co_u32 v5, vcc_lo, s18, v5
	v_add_co_ci_u32_e32 v6, vcc_lo, s19, v6, vcc_lo
	global_load_b32 v5, v[5:6], off
	s_waitcnt vmcnt(0)
	v_div_scale_f32 v1, null, v5, v5, 1.0
	v_div_scale_f32 v9, vcc_lo, 1.0, v5, 1.0
	s_delay_alu instid0(VALU_DEP_2) | instskip(SKIP_2) | instid1(VALU_DEP_1)
	v_rcp_f32_e32 v6, v1
	s_waitcnt_depctr 0xfff
	v_fma_f32 v8, -v1, v6, 1.0
	v_fmac_f32_e32 v6, v8, v6
	s_delay_alu instid0(VALU_DEP_1) | instskip(NEXT) | instid1(VALU_DEP_1)
	v_mul_f32_e32 v8, v9, v6
	v_fma_f32 v10, -v1, v8, v9
	s_delay_alu instid0(VALU_DEP_1) | instskip(NEXT) | instid1(VALU_DEP_1)
	v_fmac_f32_e32 v8, v10, v6
	v_fma_f32 v1, -v1, v8, v9
	s_delay_alu instid0(VALU_DEP_1) | instskip(SKIP_1) | instid1(VALU_DEP_2)
	v_div_fmas_f32 v6, v1, v6, v8
	v_lshlrev_b64 v[1:2], 1, v[2:3]
	v_div_fixup_f32 v3, v6, v5, 1.0
	v_cmpx_eq_u32_e32 0, v7
	s_cbranch_execz .LBB15_17
; %bb.16:
	s_delay_alu instid0(VALU_DEP_3) | instskip(NEXT) | instid1(VALU_DEP_4)
	v_add_co_u32 v5, vcc_lo, s6, v1
	v_add_co_ci_u32_e32 v6, vcc_lo, s7, v2, vcc_lo
	s_waitcnt lgkmcnt(0)
	v_fma_mixlo_f16 v8, v4, v3, 0
	global_store_b16 v[5:6], v8, off
.LBB15_17:
	s_or_b32 exec_lo, exec_lo, s12
	s_and_saveexec_b32 s6, s0
	s_cbranch_execz .LBB15_20
; %bb.18:
	v_add_co_u32 v1, vcc_lo, s16, v1
	v_add_co_ci_u32_e32 v2, vcc_lo, s17, v2, vcc_lo
	v_mul_f32_e32 v5, v3, v3
	s_mov_b32 s6, 0
	global_load_u16 v1, v[1:2], off
	v_mul_f32_e32 v5, v3, v5
	s_waitcnt vmcnt(0)
	v_cvt_f32_f16_e32 v2, v1
	.p2align	6
.LBB15_19:                              ; =>This Inner Loop Header: Depth=1
	v_ashrrev_i32_e32 v1, 31, v0
	v_add_nc_u32_e32 v7, s1, v7
	s_delay_alu instid0(VALU_DEP_2) | instskip(SKIP_1) | instid1(VALU_DEP_2)
	v_lshlrev_b64 v[8:9], 1, v[0:1]
	v_add_nc_u32_e32 v0, s2, v0
	v_add_co_u32 v10, vcc_lo, s10, v8
	s_delay_alu instid0(VALU_DEP_3)
	v_add_co_ci_u32_e32 v11, vcc_lo, s11, v9, vcc_lo
	global_load_u16 v1, v[10:11], off
	v_add_co_u32 v10, vcc_lo, s8, v8
	v_add_co_ci_u32_e32 v11, vcc_lo, s9, v9, vcc_lo
	v_cmp_le_i32_e32 vcc_lo, s3, v7
	v_add_co_u32 v8, s0, s4, v8
	global_load_u16 v6, v[10:11], off
	v_add_co_ci_u32_e64 v9, s0, s5, v9, s0
	s_or_b32 s6, vcc_lo, s6
	s_waitcnt vmcnt(1)
	v_cvt_f32_f16_e32 v1, v1
	s_delay_alu instid0(VALU_DEP_1) | instskip(SKIP_1) | instid1(VALU_DEP_1)
	v_mul_f32_e32 v1, v5, v1
	s_waitcnt lgkmcnt(0)
	v_mul_f32_e32 v1, v4, v1
	s_waitcnt vmcnt(0)
	s_delay_alu instid0(VALU_DEP_1) | instskip(NEXT) | instid1(VALU_DEP_1)
	v_fma_mix_f32 v1, v3, v6, -v1 op_sel_hi:[0,1,0]
	v_fma_mixlo_f16 v1, v1, v2, 0
	global_store_b16 v[8:9], v1, off
	s_and_not1_b32 exec_lo, exec_lo, s6
	s_cbranch_execnz .LBB15_19
.LBB15_20:
	s_nop 0
	s_sendmsg sendmsg(MSG_DEALLOC_VGPRS)
	s_endpgm
	.p2align	6
.LBB15_21:                              ;   in Loop: Header=BB15_22 Depth=1
	s_or_b32 exec_lo, exec_lo, s15
	s_lshr_b32 s15, s13, 1
	s_cmpk_lt_u32 s13, 0x80
	s_mov_b32 s13, s15
	s_waitcnt lgkmcnt(0)
	s_barrier
	buffer_gl0_inv
	s_cbranch_scc1 .LBB15_7
.LBB15_22:                              ; =>This Inner Loop Header: Depth=1
	s_mov_b32 s15, exec_lo
	v_cmpx_gt_i32_e64 s13, v5
	s_cbranch_execz .LBB15_21
; %bb.23:                               ;   in Loop: Header=BB15_22 Depth=1
	v_lshl_add_u32 v6, s13, 2, v3
	ds_load_b32 v8, v3
	ds_load_b32 v6, v6
	s_waitcnt lgkmcnt(0)
	v_add_f32_e32 v6, v8, v6
	ds_store_b32 v3, v6
	s_branch .LBB15_21
	.section	.rodata,"a",@progbits
	.p2align	6, 0x0
	.amdhsa_kernel _ZN2at6native12_GLOBAL__N_131weight_norm_bwd_last_dim_kernelIN3c104HalfEfEEvPT_S6_PKS5_S8_S8_PKT0_ii
		.amdhsa_group_segment_fixed_size 0
		.amdhsa_private_segment_fixed_size 0
		.amdhsa_kernarg_size 312
		.amdhsa_user_sgpr_count 15
		.amdhsa_user_sgpr_dispatch_ptr 0
		.amdhsa_user_sgpr_queue_ptr 0
		.amdhsa_user_sgpr_kernarg_segment_ptr 1
		.amdhsa_user_sgpr_dispatch_id 0
		.amdhsa_user_sgpr_private_segment_size 0
		.amdhsa_wavefront_size32 1
		.amdhsa_uses_dynamic_stack 0
		.amdhsa_enable_private_segment 0
		.amdhsa_system_sgpr_workgroup_id_x 1
		.amdhsa_system_sgpr_workgroup_id_y 0
		.amdhsa_system_sgpr_workgroup_id_z 0
		.amdhsa_system_sgpr_workgroup_info 0
		.amdhsa_system_vgpr_workitem_id 1
		.amdhsa_next_free_vgpr 12
		.amdhsa_next_free_sgpr 20
		.amdhsa_reserve_vcc 1
		.amdhsa_float_round_mode_32 0
		.amdhsa_float_round_mode_16_64 0
		.amdhsa_float_denorm_mode_32 3
		.amdhsa_float_denorm_mode_16_64 3
		.amdhsa_dx10_clamp 1
		.amdhsa_ieee_mode 1
		.amdhsa_fp16_overflow 0
		.amdhsa_workgroup_processor_mode 1
		.amdhsa_memory_ordered 1
		.amdhsa_forward_progress 0
		.amdhsa_shared_vgpr_count 0
		.amdhsa_exception_fp_ieee_invalid_op 0
		.amdhsa_exception_fp_denorm_src 0
		.amdhsa_exception_fp_ieee_div_zero 0
		.amdhsa_exception_fp_ieee_overflow 0
		.amdhsa_exception_fp_ieee_underflow 0
		.amdhsa_exception_fp_ieee_inexact 0
		.amdhsa_exception_int_div_zero 0
	.end_amdhsa_kernel
	.section	.text._ZN2at6native12_GLOBAL__N_131weight_norm_bwd_last_dim_kernelIN3c104HalfEfEEvPT_S6_PKS5_S8_S8_PKT0_ii,"axG",@progbits,_ZN2at6native12_GLOBAL__N_131weight_norm_bwd_last_dim_kernelIN3c104HalfEfEEvPT_S6_PKS5_S8_S8_PKT0_ii,comdat
.Lfunc_end15:
	.size	_ZN2at6native12_GLOBAL__N_131weight_norm_bwd_last_dim_kernelIN3c104HalfEfEEvPT_S6_PKS5_S8_S8_PKT0_ii, .Lfunc_end15-_ZN2at6native12_GLOBAL__N_131weight_norm_bwd_last_dim_kernelIN3c104HalfEfEEvPT_S6_PKS5_S8_S8_PKT0_ii
                                        ; -- End function
	.section	.AMDGPU.csdata,"",@progbits
; Kernel info:
; codeLenInByte = 1008
; NumSgprs: 22
; NumVgprs: 12
; ScratchSize: 0
; MemoryBound: 0
; FloatMode: 240
; IeeeMode: 1
; LDSByteSize: 0 bytes/workgroup (compile time only)
; SGPRBlocks: 2
; VGPRBlocks: 1
; NumSGPRsForWavesPerEU: 22
; NumVGPRsForWavesPerEU: 12
; Occupancy: 16
; WaveLimiterHint : 0
; COMPUTE_PGM_RSRC2:SCRATCH_EN: 0
; COMPUTE_PGM_RSRC2:USER_SGPR: 15
; COMPUTE_PGM_RSRC2:TRAP_HANDLER: 0
; COMPUTE_PGM_RSRC2:TGID_X_EN: 1
; COMPUTE_PGM_RSRC2:TGID_Y_EN: 0
; COMPUTE_PGM_RSRC2:TGID_Z_EN: 0
; COMPUTE_PGM_RSRC2:TIDIG_COMP_CNT: 1
	.text
	.p2alignl 7, 3214868480
	.fill 96, 4, 3214868480
	.type	__hip_cuid_49bddb2a03a1d0f5,@object ; @__hip_cuid_49bddb2a03a1d0f5
	.section	.bss,"aw",@nobits
	.globl	__hip_cuid_49bddb2a03a1d0f5
__hip_cuid_49bddb2a03a1d0f5:
	.byte	0                               ; 0x0
	.size	__hip_cuid_49bddb2a03a1d0f5, 1

	.ident	"AMD clang version 19.0.0git (https://github.com/RadeonOpenCompute/llvm-project roc-6.4.0 25133 c7fe45cf4b819c5991fe208aaa96edf142730f1d)"
	.section	".note.GNU-stack","",@progbits
	.addrsig
	.addrsig_sym __hip_cuid_49bddb2a03a1d0f5
	.amdgpu_metadata
---
amdhsa.kernels:
  - .args:
      - .actual_access:  write_only
        .address_space:  global
        .offset:         0
        .size:           8
        .value_kind:     global_buffer
      - .actual_access:  write_only
        .address_space:  global
        .offset:         8
        .size:           8
        .value_kind:     global_buffer
      - .actual_access:  read_only
        .address_space:  global
        .offset:         16
        .size:           8
        .value_kind:     global_buffer
      - .actual_access:  read_only
        .address_space:  global
        .offset:         24
        .size:           8
        .value_kind:     global_buffer
      - .offset:         32
        .size:           4
        .value_kind:     by_value
      - .offset:         40
        .size:           4
        .value_kind:     hidden_block_count_x
      - .offset:         44
        .size:           4
        .value_kind:     hidden_block_count_y
      - .offset:         48
        .size:           4
        .value_kind:     hidden_block_count_z
      - .offset:         52
        .size:           2
        .value_kind:     hidden_group_size_x
      - .offset:         54
        .size:           2
        .value_kind:     hidden_group_size_y
      - .offset:         56
        .size:           2
        .value_kind:     hidden_group_size_z
      - .offset:         58
        .size:           2
        .value_kind:     hidden_remainder_x
      - .offset:         60
        .size:           2
        .value_kind:     hidden_remainder_y
      - .offset:         62
        .size:           2
        .value_kind:     hidden_remainder_z
      - .offset:         80
        .size:           8
        .value_kind:     hidden_global_offset_x
      - .offset:         88
        .size:           8
        .value_kind:     hidden_global_offset_y
      - .offset:         96
        .size:           8
        .value_kind:     hidden_global_offset_z
      - .offset:         104
        .size:           2
        .value_kind:     hidden_grid_dims
      - .offset:         160
        .size:           4
        .value_kind:     hidden_dynamic_lds_size
    .group_segment_fixed_size: 0
    .kernarg_segment_align: 8
    .kernarg_segment_size: 296
    .language:       OpenCL C
    .language_version:
      - 2
      - 0
    .max_flat_workgroup_size: 1024
    .name:           _ZN2at6native12_GLOBAL__N_132weight_norm_fwd_first_dim_kernelIddEEvPT_PT0_PKS3_S8_i
    .private_segment_fixed_size: 0
    .sgpr_count:     20
    .sgpr_spill_count: 0
    .symbol:         _ZN2at6native12_GLOBAL__N_132weight_norm_fwd_first_dim_kernelIddEEvPT_PT0_PKS3_S8_i.kd
    .uniform_work_group_size: 1
    .uses_dynamic_stack: false
    .vgpr_count:     14
    .vgpr_spill_count: 0
    .wavefront_size: 32
    .workgroup_processor_mode: 1
  - .args:
      - .actual_access:  write_only
        .address_space:  global
        .offset:         0
        .size:           8
        .value_kind:     global_buffer
      - .actual_access:  write_only
        .address_space:  global
        .offset:         8
        .size:           8
        .value_kind:     global_buffer
      - .actual_access:  read_only
        .address_space:  global
        .offset:         16
        .size:           8
        .value_kind:     global_buffer
      - .actual_access:  read_only
        .address_space:  global
        .offset:         24
        .size:           8
        .value_kind:     global_buffer
      - .offset:         32
        .size:           4
        .value_kind:     by_value
      - .offset:         40
        .size:           4
        .value_kind:     hidden_block_count_x
      - .offset:         44
        .size:           4
        .value_kind:     hidden_block_count_y
      - .offset:         48
        .size:           4
        .value_kind:     hidden_block_count_z
      - .offset:         52
        .size:           2
        .value_kind:     hidden_group_size_x
      - .offset:         54
        .size:           2
        .value_kind:     hidden_group_size_y
      - .offset:         56
        .size:           2
        .value_kind:     hidden_group_size_z
      - .offset:         58
        .size:           2
        .value_kind:     hidden_remainder_x
      - .offset:         60
        .size:           2
        .value_kind:     hidden_remainder_y
      - .offset:         62
        .size:           2
        .value_kind:     hidden_remainder_z
      - .offset:         80
        .size:           8
        .value_kind:     hidden_global_offset_x
      - .offset:         88
        .size:           8
        .value_kind:     hidden_global_offset_y
      - .offset:         96
        .size:           8
        .value_kind:     hidden_global_offset_z
      - .offset:         104
        .size:           2
        .value_kind:     hidden_grid_dims
      - .offset:         160
        .size:           4
        .value_kind:     hidden_dynamic_lds_size
    .group_segment_fixed_size: 0
    .kernarg_segment_align: 8
    .kernarg_segment_size: 296
    .language:       OpenCL C
    .language_version:
      - 2
      - 0
    .max_flat_workgroup_size: 1024
    .name:           _ZN2at6native12_GLOBAL__N_132weight_norm_fwd_first_dim_kernelIffEEvPT_PT0_PKS3_S8_i
    .private_segment_fixed_size: 0
    .sgpr_count:     20
    .sgpr_spill_count: 0
    .symbol:         _ZN2at6native12_GLOBAL__N_132weight_norm_fwd_first_dim_kernelIffEEvPT_PT0_PKS3_S8_i.kd
    .uniform_work_group_size: 1
    .uses_dynamic_stack: false
    .vgpr_count:     10
    .vgpr_spill_count: 0
    .wavefront_size: 32
    .workgroup_processor_mode: 1
  - .args:
      - .actual_access:  write_only
        .address_space:  global
        .offset:         0
        .size:           8
        .value_kind:     global_buffer
      - .actual_access:  write_only
        .address_space:  global
        .offset:         8
        .size:           8
        .value_kind:     global_buffer
      - .actual_access:  read_only
        .address_space:  global
        .offset:         16
        .size:           8
        .value_kind:     global_buffer
      - .actual_access:  read_only
        .address_space:  global
        .offset:         24
        .size:           8
        .value_kind:     global_buffer
      - .offset:         32
        .size:           4
        .value_kind:     by_value
      - .offset:         40
        .size:           4
        .value_kind:     hidden_block_count_x
      - .offset:         44
        .size:           4
        .value_kind:     hidden_block_count_y
      - .offset:         48
        .size:           4
        .value_kind:     hidden_block_count_z
      - .offset:         52
        .size:           2
        .value_kind:     hidden_group_size_x
      - .offset:         54
        .size:           2
        .value_kind:     hidden_group_size_y
      - .offset:         56
        .size:           2
        .value_kind:     hidden_group_size_z
      - .offset:         58
        .size:           2
        .value_kind:     hidden_remainder_x
      - .offset:         60
        .size:           2
        .value_kind:     hidden_remainder_y
      - .offset:         62
        .size:           2
        .value_kind:     hidden_remainder_z
      - .offset:         80
        .size:           8
        .value_kind:     hidden_global_offset_x
      - .offset:         88
        .size:           8
        .value_kind:     hidden_global_offset_y
      - .offset:         96
        .size:           8
        .value_kind:     hidden_global_offset_z
      - .offset:         104
        .size:           2
        .value_kind:     hidden_grid_dims
      - .offset:         160
        .size:           4
        .value_kind:     hidden_dynamic_lds_size
    .group_segment_fixed_size: 0
    .kernarg_segment_align: 8
    .kernarg_segment_size: 296
    .language:       OpenCL C
    .language_version:
      - 2
      - 0
    .max_flat_workgroup_size: 1024
    .name:           _ZN2at6native12_GLOBAL__N_132weight_norm_fwd_first_dim_kernelIN3c108BFloat16EfEEvPT_PT0_PKS5_SA_i
    .private_segment_fixed_size: 0
    .sgpr_count:     21
    .sgpr_spill_count: 0
    .symbol:         _ZN2at6native12_GLOBAL__N_132weight_norm_fwd_first_dim_kernelIN3c108BFloat16EfEEvPT_PT0_PKS5_SA_i.kd
    .uniform_work_group_size: 1
    .uses_dynamic_stack: false
    .vgpr_count:     13
    .vgpr_spill_count: 0
    .wavefront_size: 32
    .workgroup_processor_mode: 1
  - .args:
      - .actual_access:  write_only
        .address_space:  global
        .offset:         0
        .size:           8
        .value_kind:     global_buffer
      - .actual_access:  write_only
        .address_space:  global
        .offset:         8
        .size:           8
        .value_kind:     global_buffer
      - .actual_access:  read_only
        .address_space:  global
        .offset:         16
        .size:           8
        .value_kind:     global_buffer
      - .actual_access:  read_only
        .address_space:  global
        .offset:         24
        .size:           8
        .value_kind:     global_buffer
      - .offset:         32
        .size:           4
        .value_kind:     by_value
      - .offset:         40
        .size:           4
        .value_kind:     hidden_block_count_x
      - .offset:         44
        .size:           4
        .value_kind:     hidden_block_count_y
      - .offset:         48
        .size:           4
        .value_kind:     hidden_block_count_z
      - .offset:         52
        .size:           2
        .value_kind:     hidden_group_size_x
      - .offset:         54
        .size:           2
        .value_kind:     hidden_group_size_y
      - .offset:         56
        .size:           2
        .value_kind:     hidden_group_size_z
      - .offset:         58
        .size:           2
        .value_kind:     hidden_remainder_x
      - .offset:         60
        .size:           2
        .value_kind:     hidden_remainder_y
      - .offset:         62
        .size:           2
        .value_kind:     hidden_remainder_z
      - .offset:         80
        .size:           8
        .value_kind:     hidden_global_offset_x
      - .offset:         88
        .size:           8
        .value_kind:     hidden_global_offset_y
      - .offset:         96
        .size:           8
        .value_kind:     hidden_global_offset_z
      - .offset:         104
        .size:           2
        .value_kind:     hidden_grid_dims
      - .offset:         160
        .size:           4
        .value_kind:     hidden_dynamic_lds_size
    .group_segment_fixed_size: 0
    .kernarg_segment_align: 8
    .kernarg_segment_size: 296
    .language:       OpenCL C
    .language_version:
      - 2
      - 0
    .max_flat_workgroup_size: 1024
    .name:           _ZN2at6native12_GLOBAL__N_132weight_norm_fwd_first_dim_kernelIN3c104HalfEfEEvPT_PT0_PKS5_SA_i
    .private_segment_fixed_size: 0
    .sgpr_count:     21
    .sgpr_spill_count: 0
    .symbol:         _ZN2at6native12_GLOBAL__N_132weight_norm_fwd_first_dim_kernelIN3c104HalfEfEEvPT_PT0_PKS5_SA_i.kd
    .uniform_work_group_size: 1
    .uses_dynamic_stack: false
    .vgpr_count:     12
    .vgpr_spill_count: 0
    .wavefront_size: 32
    .workgroup_processor_mode: 1
  - .args:
      - .actual_access:  write_only
        .address_space:  global
        .offset:         0
        .size:           8
        .value_kind:     global_buffer
      - .actual_access:  write_only
        .address_space:  global
        .offset:         8
        .size:           8
        .value_kind:     global_buffer
      - .actual_access:  read_only
        .address_space:  global
        .offset:         16
        .size:           8
        .value_kind:     global_buffer
      - .actual_access:  read_only
        .address_space:  global
        .offset:         24
        .size:           8
        .value_kind:     global_buffer
      - .offset:         32
        .size:           4
        .value_kind:     by_value
      - .offset:         36
        .size:           4
        .value_kind:     by_value
      - .offset:         40
        .size:           4
        .value_kind:     hidden_block_count_x
      - .offset:         44
        .size:           4
        .value_kind:     hidden_block_count_y
      - .offset:         48
        .size:           4
        .value_kind:     hidden_block_count_z
      - .offset:         52
        .size:           2
        .value_kind:     hidden_group_size_x
      - .offset:         54
        .size:           2
        .value_kind:     hidden_group_size_y
      - .offset:         56
        .size:           2
        .value_kind:     hidden_group_size_z
      - .offset:         58
        .size:           2
        .value_kind:     hidden_remainder_x
      - .offset:         60
        .size:           2
        .value_kind:     hidden_remainder_y
      - .offset:         62
        .size:           2
        .value_kind:     hidden_remainder_z
      - .offset:         80
        .size:           8
        .value_kind:     hidden_global_offset_x
      - .offset:         88
        .size:           8
        .value_kind:     hidden_global_offset_y
      - .offset:         96
        .size:           8
        .value_kind:     hidden_global_offset_z
      - .offset:         104
        .size:           2
        .value_kind:     hidden_grid_dims
      - .offset:         160
        .size:           4
        .value_kind:     hidden_dynamic_lds_size
    .group_segment_fixed_size: 0
    .kernarg_segment_align: 8
    .kernarg_segment_size: 296
    .language:       OpenCL C
    .language_version:
      - 2
      - 0
    .max_flat_workgroup_size: 1024
    .name:           _ZN2at6native12_GLOBAL__N_131weight_norm_fwd_last_dim_kernelIddEEvPT_PT0_PKS3_S8_ii
    .private_segment_fixed_size: 0
    .sgpr_count:     19
    .sgpr_spill_count: 0
    .symbol:         _ZN2at6native12_GLOBAL__N_131weight_norm_fwd_last_dim_kernelIddEEvPT_PT0_PKS3_S8_ii.kd
    .uniform_work_group_size: 1
    .uses_dynamic_stack: false
    .vgpr_count:     17
    .vgpr_spill_count: 0
    .wavefront_size: 32
    .workgroup_processor_mode: 1
  - .args:
      - .actual_access:  write_only
        .address_space:  global
        .offset:         0
        .size:           8
        .value_kind:     global_buffer
      - .actual_access:  write_only
        .address_space:  global
        .offset:         8
        .size:           8
        .value_kind:     global_buffer
      - .actual_access:  read_only
        .address_space:  global
        .offset:         16
        .size:           8
        .value_kind:     global_buffer
      - .actual_access:  read_only
        .address_space:  global
        .offset:         24
        .size:           8
        .value_kind:     global_buffer
      - .offset:         32
        .size:           4
        .value_kind:     by_value
      - .offset:         36
        .size:           4
        .value_kind:     by_value
      - .offset:         40
        .size:           4
        .value_kind:     hidden_block_count_x
      - .offset:         44
        .size:           4
        .value_kind:     hidden_block_count_y
      - .offset:         48
        .size:           4
        .value_kind:     hidden_block_count_z
      - .offset:         52
        .size:           2
        .value_kind:     hidden_group_size_x
      - .offset:         54
        .size:           2
        .value_kind:     hidden_group_size_y
      - .offset:         56
        .size:           2
        .value_kind:     hidden_group_size_z
      - .offset:         58
        .size:           2
        .value_kind:     hidden_remainder_x
      - .offset:         60
        .size:           2
        .value_kind:     hidden_remainder_y
      - .offset:         62
        .size:           2
        .value_kind:     hidden_remainder_z
      - .offset:         80
        .size:           8
        .value_kind:     hidden_global_offset_x
      - .offset:         88
        .size:           8
        .value_kind:     hidden_global_offset_y
      - .offset:         96
        .size:           8
        .value_kind:     hidden_global_offset_z
      - .offset:         104
        .size:           2
        .value_kind:     hidden_grid_dims
      - .offset:         160
        .size:           4
        .value_kind:     hidden_dynamic_lds_size
    .group_segment_fixed_size: 0
    .kernarg_segment_align: 8
    .kernarg_segment_size: 296
    .language:       OpenCL C
    .language_version:
      - 2
      - 0
    .max_flat_workgroup_size: 1024
    .name:           _ZN2at6native12_GLOBAL__N_131weight_norm_fwd_last_dim_kernelIffEEvPT_PT0_PKS3_S8_ii
    .private_segment_fixed_size: 0
    .sgpr_count:     19
    .sgpr_spill_count: 0
    .symbol:         _ZN2at6native12_GLOBAL__N_131weight_norm_fwd_last_dim_kernelIffEEvPT_PT0_PKS3_S8_ii.kd
    .uniform_work_group_size: 1
    .uses_dynamic_stack: false
    .vgpr_count:     12
    .vgpr_spill_count: 0
    .wavefront_size: 32
    .workgroup_processor_mode: 1
  - .args:
      - .actual_access:  write_only
        .address_space:  global
        .offset:         0
        .size:           8
        .value_kind:     global_buffer
      - .actual_access:  write_only
        .address_space:  global
        .offset:         8
        .size:           8
        .value_kind:     global_buffer
      - .actual_access:  read_only
        .address_space:  global
        .offset:         16
        .size:           8
        .value_kind:     global_buffer
      - .actual_access:  read_only
        .address_space:  global
        .offset:         24
        .size:           8
        .value_kind:     global_buffer
      - .offset:         32
        .size:           4
        .value_kind:     by_value
      - .offset:         36
        .size:           4
        .value_kind:     by_value
      - .offset:         40
        .size:           4
        .value_kind:     hidden_block_count_x
      - .offset:         44
        .size:           4
        .value_kind:     hidden_block_count_y
      - .offset:         48
        .size:           4
        .value_kind:     hidden_block_count_z
      - .offset:         52
        .size:           2
        .value_kind:     hidden_group_size_x
      - .offset:         54
        .size:           2
        .value_kind:     hidden_group_size_y
      - .offset:         56
        .size:           2
        .value_kind:     hidden_group_size_z
      - .offset:         58
        .size:           2
        .value_kind:     hidden_remainder_x
      - .offset:         60
        .size:           2
        .value_kind:     hidden_remainder_y
      - .offset:         62
        .size:           2
        .value_kind:     hidden_remainder_z
      - .offset:         80
        .size:           8
        .value_kind:     hidden_global_offset_x
      - .offset:         88
        .size:           8
        .value_kind:     hidden_global_offset_y
      - .offset:         96
        .size:           8
        .value_kind:     hidden_global_offset_z
      - .offset:         104
        .size:           2
        .value_kind:     hidden_grid_dims
      - .offset:         160
        .size:           4
        .value_kind:     hidden_dynamic_lds_size
    .group_segment_fixed_size: 0
    .kernarg_segment_align: 8
    .kernarg_segment_size: 296
    .language:       OpenCL C
    .language_version:
      - 2
      - 0
    .max_flat_workgroup_size: 1024
    .name:           _ZN2at6native12_GLOBAL__N_131weight_norm_fwd_last_dim_kernelIN3c108BFloat16EfEEvPT_PT0_PKS5_SA_ii
    .private_segment_fixed_size: 0
    .sgpr_count:     19
    .sgpr_spill_count: 0
    .symbol:         _ZN2at6native12_GLOBAL__N_131weight_norm_fwd_last_dim_kernelIN3c108BFloat16EfEEvPT_PT0_PKS5_SA_ii.kd
    .uniform_work_group_size: 1
    .uses_dynamic_stack: false
    .vgpr_count:     12
    .vgpr_spill_count: 0
    .wavefront_size: 32
    .workgroup_processor_mode: 1
  - .args:
      - .actual_access:  write_only
        .address_space:  global
        .offset:         0
        .size:           8
        .value_kind:     global_buffer
      - .actual_access:  write_only
        .address_space:  global
        .offset:         8
        .size:           8
        .value_kind:     global_buffer
      - .actual_access:  read_only
        .address_space:  global
        .offset:         16
        .size:           8
        .value_kind:     global_buffer
      - .actual_access:  read_only
        .address_space:  global
        .offset:         24
        .size:           8
        .value_kind:     global_buffer
      - .offset:         32
        .size:           4
        .value_kind:     by_value
      - .offset:         36
        .size:           4
        .value_kind:     by_value
      - .offset:         40
        .size:           4
        .value_kind:     hidden_block_count_x
      - .offset:         44
        .size:           4
        .value_kind:     hidden_block_count_y
      - .offset:         48
        .size:           4
        .value_kind:     hidden_block_count_z
      - .offset:         52
        .size:           2
        .value_kind:     hidden_group_size_x
      - .offset:         54
        .size:           2
        .value_kind:     hidden_group_size_y
      - .offset:         56
        .size:           2
        .value_kind:     hidden_group_size_z
      - .offset:         58
        .size:           2
        .value_kind:     hidden_remainder_x
      - .offset:         60
        .size:           2
        .value_kind:     hidden_remainder_y
      - .offset:         62
        .size:           2
        .value_kind:     hidden_remainder_z
      - .offset:         80
        .size:           8
        .value_kind:     hidden_global_offset_x
      - .offset:         88
        .size:           8
        .value_kind:     hidden_global_offset_y
      - .offset:         96
        .size:           8
        .value_kind:     hidden_global_offset_z
      - .offset:         104
        .size:           2
        .value_kind:     hidden_grid_dims
      - .offset:         160
        .size:           4
        .value_kind:     hidden_dynamic_lds_size
    .group_segment_fixed_size: 0
    .kernarg_segment_align: 8
    .kernarg_segment_size: 296
    .language:       OpenCL C
    .language_version:
      - 2
      - 0
    .max_flat_workgroup_size: 1024
    .name:           _ZN2at6native12_GLOBAL__N_131weight_norm_fwd_last_dim_kernelIN3c104HalfEfEEvPT_PT0_PKS5_SA_ii
    .private_segment_fixed_size: 0
    .sgpr_count:     19
    .sgpr_spill_count: 0
    .symbol:         _ZN2at6native12_GLOBAL__N_131weight_norm_fwd_last_dim_kernelIN3c104HalfEfEEvPT_PT0_PKS5_SA_ii.kd
    .uniform_work_group_size: 1
    .uses_dynamic_stack: false
    .vgpr_count:     12
    .vgpr_spill_count: 0
    .wavefront_size: 32
    .workgroup_processor_mode: 1
  - .args:
      - .actual_access:  write_only
        .address_space:  global
        .offset:         0
        .size:           8
        .value_kind:     global_buffer
      - .actual_access:  write_only
        .address_space:  global
        .offset:         8
        .size:           8
        .value_kind:     global_buffer
      - .actual_access:  read_only
        .address_space:  global
        .offset:         16
        .size:           8
        .value_kind:     global_buffer
      - .actual_access:  read_only
        .address_space:  global
        .offset:         24
        .size:           8
        .value_kind:     global_buffer
      - .actual_access:  read_only
        .address_space:  global
        .offset:         32
        .size:           8
        .value_kind:     global_buffer
      - .actual_access:  read_only
        .address_space:  global
        .offset:         40
        .size:           8
        .value_kind:     global_buffer
      - .offset:         48
        .size:           4
        .value_kind:     by_value
      - .offset:         56
        .size:           4
        .value_kind:     hidden_block_count_x
      - .offset:         60
        .size:           4
        .value_kind:     hidden_block_count_y
      - .offset:         64
        .size:           4
        .value_kind:     hidden_block_count_z
      - .offset:         68
        .size:           2
        .value_kind:     hidden_group_size_x
      - .offset:         70
        .size:           2
        .value_kind:     hidden_group_size_y
      - .offset:         72
        .size:           2
        .value_kind:     hidden_group_size_z
      - .offset:         74
        .size:           2
        .value_kind:     hidden_remainder_x
      - .offset:         76
        .size:           2
        .value_kind:     hidden_remainder_y
      - .offset:         78
        .size:           2
        .value_kind:     hidden_remainder_z
      - .offset:         96
        .size:           8
        .value_kind:     hidden_global_offset_x
      - .offset:         104
        .size:           8
        .value_kind:     hidden_global_offset_y
      - .offset:         112
        .size:           8
        .value_kind:     hidden_global_offset_z
      - .offset:         120
        .size:           2
        .value_kind:     hidden_grid_dims
      - .offset:         176
        .size:           4
        .value_kind:     hidden_dynamic_lds_size
    .group_segment_fixed_size: 0
    .kernarg_segment_align: 8
    .kernarg_segment_size: 312
    .language:       OpenCL C
    .language_version:
      - 2
      - 0
    .max_flat_workgroup_size: 1024
    .name:           _ZN2at6native12_GLOBAL__N_132weight_norm_bwd_first_dim_kernelIddEEvPT_S4_PKS3_S6_S6_PKT0_i
    .private_segment_fixed_size: 0
    .sgpr_count:     24
    .sgpr_spill_count: 0
    .symbol:         _ZN2at6native12_GLOBAL__N_132weight_norm_bwd_first_dim_kernelIddEEvPT_S4_PKS3_S6_S6_PKT0_i.kd
    .uniform_work_group_size: 1
    .uses_dynamic_stack: false
    .vgpr_count:     14
    .vgpr_spill_count: 0
    .wavefront_size: 32
    .workgroup_processor_mode: 1
  - .args:
      - .actual_access:  write_only
        .address_space:  global
        .offset:         0
        .size:           8
        .value_kind:     global_buffer
      - .actual_access:  write_only
        .address_space:  global
        .offset:         8
        .size:           8
        .value_kind:     global_buffer
      - .actual_access:  read_only
        .address_space:  global
        .offset:         16
        .size:           8
        .value_kind:     global_buffer
      - .actual_access:  read_only
        .address_space:  global
        .offset:         24
        .size:           8
        .value_kind:     global_buffer
      - .actual_access:  read_only
        .address_space:  global
        .offset:         32
        .size:           8
        .value_kind:     global_buffer
      - .actual_access:  read_only
        .address_space:  global
        .offset:         40
        .size:           8
        .value_kind:     global_buffer
      - .offset:         48
        .size:           4
        .value_kind:     by_value
      - .offset:         56
        .size:           4
        .value_kind:     hidden_block_count_x
      - .offset:         60
        .size:           4
        .value_kind:     hidden_block_count_y
      - .offset:         64
        .size:           4
        .value_kind:     hidden_block_count_z
      - .offset:         68
        .size:           2
        .value_kind:     hidden_group_size_x
      - .offset:         70
        .size:           2
        .value_kind:     hidden_group_size_y
      - .offset:         72
        .size:           2
        .value_kind:     hidden_group_size_z
      - .offset:         74
        .size:           2
        .value_kind:     hidden_remainder_x
      - .offset:         76
        .size:           2
        .value_kind:     hidden_remainder_y
      - .offset:         78
        .size:           2
        .value_kind:     hidden_remainder_z
      - .offset:         96
        .size:           8
        .value_kind:     hidden_global_offset_x
      - .offset:         104
        .size:           8
        .value_kind:     hidden_global_offset_y
      - .offset:         112
        .size:           8
        .value_kind:     hidden_global_offset_z
      - .offset:         120
        .size:           2
        .value_kind:     hidden_grid_dims
      - .offset:         176
        .size:           4
        .value_kind:     hidden_dynamic_lds_size
    .group_segment_fixed_size: 0
    .kernarg_segment_align: 8
    .kernarg_segment_size: 312
    .language:       OpenCL C
    .language_version:
      - 2
      - 0
    .max_flat_workgroup_size: 1024
    .name:           _ZN2at6native12_GLOBAL__N_132weight_norm_bwd_first_dim_kernelIffEEvPT_S4_PKS3_S6_S6_PKT0_i
    .private_segment_fixed_size: 0
    .sgpr_count:     24
    .sgpr_spill_count: 0
    .symbol:         _ZN2at6native12_GLOBAL__N_132weight_norm_bwd_first_dim_kernelIffEEvPT_S4_PKS3_S6_S6_PKT0_i.kd
    .uniform_work_group_size: 1
    .uses_dynamic_stack: false
    .vgpr_count:     12
    .vgpr_spill_count: 0
    .wavefront_size: 32
    .workgroup_processor_mode: 1
  - .args:
      - .actual_access:  write_only
        .address_space:  global
        .offset:         0
        .size:           8
        .value_kind:     global_buffer
      - .actual_access:  write_only
        .address_space:  global
        .offset:         8
        .size:           8
        .value_kind:     global_buffer
      - .actual_access:  read_only
        .address_space:  global
        .offset:         16
        .size:           8
        .value_kind:     global_buffer
      - .actual_access:  read_only
        .address_space:  global
        .offset:         24
        .size:           8
        .value_kind:     global_buffer
      - .actual_access:  read_only
        .address_space:  global
        .offset:         32
        .size:           8
        .value_kind:     global_buffer
      - .actual_access:  read_only
        .address_space:  global
        .offset:         40
        .size:           8
        .value_kind:     global_buffer
      - .offset:         48
        .size:           4
        .value_kind:     by_value
      - .offset:         56
        .size:           4
        .value_kind:     hidden_block_count_x
      - .offset:         60
        .size:           4
        .value_kind:     hidden_block_count_y
      - .offset:         64
        .size:           4
        .value_kind:     hidden_block_count_z
      - .offset:         68
        .size:           2
        .value_kind:     hidden_group_size_x
      - .offset:         70
        .size:           2
        .value_kind:     hidden_group_size_y
      - .offset:         72
        .size:           2
        .value_kind:     hidden_group_size_z
      - .offset:         74
        .size:           2
        .value_kind:     hidden_remainder_x
      - .offset:         76
        .size:           2
        .value_kind:     hidden_remainder_y
      - .offset:         78
        .size:           2
        .value_kind:     hidden_remainder_z
      - .offset:         96
        .size:           8
        .value_kind:     hidden_global_offset_x
      - .offset:         104
        .size:           8
        .value_kind:     hidden_global_offset_y
      - .offset:         112
        .size:           8
        .value_kind:     hidden_global_offset_z
      - .offset:         120
        .size:           2
        .value_kind:     hidden_grid_dims
      - .offset:         176
        .size:           4
        .value_kind:     hidden_dynamic_lds_size
    .group_segment_fixed_size: 0
    .kernarg_segment_align: 8
    .kernarg_segment_size: 312
    .language:       OpenCL C
    .language_version:
      - 2
      - 0
    .max_flat_workgroup_size: 1024
    .name:           _ZN2at6native12_GLOBAL__N_132weight_norm_bwd_first_dim_kernelIN3c108BFloat16EfEEvPT_S6_PKS5_S8_S8_PKT0_i
    .private_segment_fixed_size: 0
    .sgpr_count:     25
    .sgpr_spill_count: 0
    .symbol:         _ZN2at6native12_GLOBAL__N_132weight_norm_bwd_first_dim_kernelIN3c108BFloat16EfEEvPT_S6_PKS5_S8_S8_PKT0_i.kd
    .uniform_work_group_size: 1
    .uses_dynamic_stack: false
    .vgpr_count:     15
    .vgpr_spill_count: 0
    .wavefront_size: 32
    .workgroup_processor_mode: 1
  - .args:
      - .actual_access:  write_only
        .address_space:  global
        .offset:         0
        .size:           8
        .value_kind:     global_buffer
      - .actual_access:  write_only
        .address_space:  global
        .offset:         8
        .size:           8
        .value_kind:     global_buffer
      - .actual_access:  read_only
        .address_space:  global
        .offset:         16
        .size:           8
        .value_kind:     global_buffer
      - .actual_access:  read_only
        .address_space:  global
        .offset:         24
        .size:           8
        .value_kind:     global_buffer
      - .actual_access:  read_only
        .address_space:  global
        .offset:         32
        .size:           8
        .value_kind:     global_buffer
      - .actual_access:  read_only
        .address_space:  global
        .offset:         40
        .size:           8
        .value_kind:     global_buffer
      - .offset:         48
        .size:           4
        .value_kind:     by_value
      - .offset:         56
        .size:           4
        .value_kind:     hidden_block_count_x
      - .offset:         60
        .size:           4
        .value_kind:     hidden_block_count_y
      - .offset:         64
        .size:           4
        .value_kind:     hidden_block_count_z
      - .offset:         68
        .size:           2
        .value_kind:     hidden_group_size_x
      - .offset:         70
        .size:           2
        .value_kind:     hidden_group_size_y
      - .offset:         72
        .size:           2
        .value_kind:     hidden_group_size_z
      - .offset:         74
        .size:           2
        .value_kind:     hidden_remainder_x
      - .offset:         76
        .size:           2
        .value_kind:     hidden_remainder_y
      - .offset:         78
        .size:           2
        .value_kind:     hidden_remainder_z
      - .offset:         96
        .size:           8
        .value_kind:     hidden_global_offset_x
      - .offset:         104
        .size:           8
        .value_kind:     hidden_global_offset_y
      - .offset:         112
        .size:           8
        .value_kind:     hidden_global_offset_z
      - .offset:         120
        .size:           2
        .value_kind:     hidden_grid_dims
      - .offset:         176
        .size:           4
        .value_kind:     hidden_dynamic_lds_size
    .group_segment_fixed_size: 0
    .kernarg_segment_align: 8
    .kernarg_segment_size: 312
    .language:       OpenCL C
    .language_version:
      - 2
      - 0
    .max_flat_workgroup_size: 1024
    .name:           _ZN2at6native12_GLOBAL__N_132weight_norm_bwd_first_dim_kernelIN3c104HalfEfEEvPT_S6_PKS5_S8_S8_PKT0_i
    .private_segment_fixed_size: 0
    .sgpr_count:     25
    .sgpr_spill_count: 0
    .symbol:         _ZN2at6native12_GLOBAL__N_132weight_norm_bwd_first_dim_kernelIN3c104HalfEfEEvPT_S6_PKS5_S8_S8_PKT0_i.kd
    .uniform_work_group_size: 1
    .uses_dynamic_stack: false
    .vgpr_count:     14
    .vgpr_spill_count: 0
    .wavefront_size: 32
    .workgroup_processor_mode: 1
  - .args:
      - .actual_access:  write_only
        .address_space:  global
        .offset:         0
        .size:           8
        .value_kind:     global_buffer
      - .actual_access:  write_only
        .address_space:  global
        .offset:         8
        .size:           8
        .value_kind:     global_buffer
      - .actual_access:  read_only
        .address_space:  global
        .offset:         16
        .size:           8
        .value_kind:     global_buffer
      - .actual_access:  read_only
        .address_space:  global
        .offset:         24
        .size:           8
        .value_kind:     global_buffer
      - .actual_access:  read_only
        .address_space:  global
        .offset:         32
        .size:           8
        .value_kind:     global_buffer
      - .actual_access:  read_only
        .address_space:  global
        .offset:         40
        .size:           8
        .value_kind:     global_buffer
      - .offset:         48
        .size:           4
        .value_kind:     by_value
      - .offset:         52
        .size:           4
        .value_kind:     by_value
      - .offset:         56
        .size:           4
        .value_kind:     hidden_block_count_x
      - .offset:         60
        .size:           4
        .value_kind:     hidden_block_count_y
      - .offset:         64
        .size:           4
        .value_kind:     hidden_block_count_z
      - .offset:         68
        .size:           2
        .value_kind:     hidden_group_size_x
      - .offset:         70
        .size:           2
        .value_kind:     hidden_group_size_y
      - .offset:         72
        .size:           2
        .value_kind:     hidden_group_size_z
      - .offset:         74
        .size:           2
        .value_kind:     hidden_remainder_x
      - .offset:         76
        .size:           2
        .value_kind:     hidden_remainder_y
      - .offset:         78
        .size:           2
        .value_kind:     hidden_remainder_z
      - .offset:         96
        .size:           8
        .value_kind:     hidden_global_offset_x
      - .offset:         104
        .size:           8
        .value_kind:     hidden_global_offset_y
      - .offset:         112
        .size:           8
        .value_kind:     hidden_global_offset_z
      - .offset:         120
        .size:           2
        .value_kind:     hidden_grid_dims
      - .offset:         176
        .size:           4
        .value_kind:     hidden_dynamic_lds_size
    .group_segment_fixed_size: 0
    .kernarg_segment_align: 8
    .kernarg_segment_size: 312
    .language:       OpenCL C
    .language_version:
      - 2
      - 0
    .max_flat_workgroup_size: 1024
    .name:           _ZN2at6native12_GLOBAL__N_131weight_norm_bwd_last_dim_kernelIddEEvPT_S4_PKS3_S6_S6_PKT0_ii
    .private_segment_fixed_size: 0
    .sgpr_count:     22
    .sgpr_spill_count: 0
    .symbol:         _ZN2at6native12_GLOBAL__N_131weight_norm_bwd_last_dim_kernelIddEEvPT_S4_PKS3_S6_S6_PKT0_ii.kd
    .uniform_work_group_size: 1
    .uses_dynamic_stack: false
    .vgpr_count:     16
    .vgpr_spill_count: 0
    .wavefront_size: 32
    .workgroup_processor_mode: 1
  - .args:
      - .actual_access:  write_only
        .address_space:  global
        .offset:         0
        .size:           8
        .value_kind:     global_buffer
      - .actual_access:  write_only
        .address_space:  global
        .offset:         8
        .size:           8
        .value_kind:     global_buffer
      - .actual_access:  read_only
        .address_space:  global
        .offset:         16
        .size:           8
        .value_kind:     global_buffer
      - .actual_access:  read_only
        .address_space:  global
        .offset:         24
        .size:           8
        .value_kind:     global_buffer
      - .actual_access:  read_only
        .address_space:  global
        .offset:         32
        .size:           8
        .value_kind:     global_buffer
      - .actual_access:  read_only
        .address_space:  global
        .offset:         40
        .size:           8
        .value_kind:     global_buffer
      - .offset:         48
        .size:           4
        .value_kind:     by_value
      - .offset:         52
        .size:           4
        .value_kind:     by_value
      - .offset:         56
        .size:           4
        .value_kind:     hidden_block_count_x
      - .offset:         60
        .size:           4
        .value_kind:     hidden_block_count_y
      - .offset:         64
        .size:           4
        .value_kind:     hidden_block_count_z
      - .offset:         68
        .size:           2
        .value_kind:     hidden_group_size_x
      - .offset:         70
        .size:           2
        .value_kind:     hidden_group_size_y
      - .offset:         72
        .size:           2
        .value_kind:     hidden_group_size_z
      - .offset:         74
        .size:           2
        .value_kind:     hidden_remainder_x
      - .offset:         76
        .size:           2
        .value_kind:     hidden_remainder_y
      - .offset:         78
        .size:           2
        .value_kind:     hidden_remainder_z
      - .offset:         96
        .size:           8
        .value_kind:     hidden_global_offset_x
      - .offset:         104
        .size:           8
        .value_kind:     hidden_global_offset_y
      - .offset:         112
        .size:           8
        .value_kind:     hidden_global_offset_z
      - .offset:         120
        .size:           2
        .value_kind:     hidden_grid_dims
      - .offset:         176
        .size:           4
        .value_kind:     hidden_dynamic_lds_size
    .group_segment_fixed_size: 0
    .kernarg_segment_align: 8
    .kernarg_segment_size: 312
    .language:       OpenCL C
    .language_version:
      - 2
      - 0
    .max_flat_workgroup_size: 1024
    .name:           _ZN2at6native12_GLOBAL__N_131weight_norm_bwd_last_dim_kernelIffEEvPT_S4_PKS3_S6_S6_PKT0_ii
    .private_segment_fixed_size: 0
    .sgpr_count:     22
    .sgpr_spill_count: 0
    .symbol:         _ZN2at6native12_GLOBAL__N_131weight_norm_bwd_last_dim_kernelIffEEvPT_S4_PKS3_S6_S6_PKT0_ii.kd
    .uniform_work_group_size: 1
    .uses_dynamic_stack: false
    .vgpr_count:     12
    .vgpr_spill_count: 0
    .wavefront_size: 32
    .workgroup_processor_mode: 1
  - .args:
      - .actual_access:  write_only
        .address_space:  global
        .offset:         0
        .size:           8
        .value_kind:     global_buffer
      - .actual_access:  write_only
        .address_space:  global
        .offset:         8
        .size:           8
        .value_kind:     global_buffer
      - .actual_access:  read_only
        .address_space:  global
        .offset:         16
        .size:           8
        .value_kind:     global_buffer
      - .actual_access:  read_only
        .address_space:  global
        .offset:         24
        .size:           8
        .value_kind:     global_buffer
      - .actual_access:  read_only
        .address_space:  global
        .offset:         32
        .size:           8
        .value_kind:     global_buffer
      - .actual_access:  read_only
        .address_space:  global
        .offset:         40
        .size:           8
        .value_kind:     global_buffer
      - .offset:         48
        .size:           4
        .value_kind:     by_value
      - .offset:         52
        .size:           4
        .value_kind:     by_value
      - .offset:         56
        .size:           4
        .value_kind:     hidden_block_count_x
      - .offset:         60
        .size:           4
        .value_kind:     hidden_block_count_y
      - .offset:         64
        .size:           4
        .value_kind:     hidden_block_count_z
      - .offset:         68
        .size:           2
        .value_kind:     hidden_group_size_x
      - .offset:         70
        .size:           2
        .value_kind:     hidden_group_size_y
      - .offset:         72
        .size:           2
        .value_kind:     hidden_group_size_z
      - .offset:         74
        .size:           2
        .value_kind:     hidden_remainder_x
      - .offset:         76
        .size:           2
        .value_kind:     hidden_remainder_y
      - .offset:         78
        .size:           2
        .value_kind:     hidden_remainder_z
      - .offset:         96
        .size:           8
        .value_kind:     hidden_global_offset_x
      - .offset:         104
        .size:           8
        .value_kind:     hidden_global_offset_y
      - .offset:         112
        .size:           8
        .value_kind:     hidden_global_offset_z
      - .offset:         120
        .size:           2
        .value_kind:     hidden_grid_dims
      - .offset:         176
        .size:           4
        .value_kind:     hidden_dynamic_lds_size
    .group_segment_fixed_size: 0
    .kernarg_segment_align: 8
    .kernarg_segment_size: 312
    .language:       OpenCL C
    .language_version:
      - 2
      - 0
    .max_flat_workgroup_size: 1024
    .name:           _ZN2at6native12_GLOBAL__N_131weight_norm_bwd_last_dim_kernelIN3c108BFloat16EfEEvPT_S6_PKS5_S8_S8_PKT0_ii
    .private_segment_fixed_size: 0
    .sgpr_count:     22
    .sgpr_spill_count: 0
    .symbol:         _ZN2at6native12_GLOBAL__N_131weight_norm_bwd_last_dim_kernelIN3c108BFloat16EfEEvPT_S6_PKS5_S8_S8_PKT0_ii.kd
    .uniform_work_group_size: 1
    .uses_dynamic_stack: false
    .vgpr_count:     12
    .vgpr_spill_count: 0
    .wavefront_size: 32
    .workgroup_processor_mode: 1
  - .args:
      - .actual_access:  write_only
        .address_space:  global
        .offset:         0
        .size:           8
        .value_kind:     global_buffer
      - .actual_access:  write_only
        .address_space:  global
        .offset:         8
        .size:           8
        .value_kind:     global_buffer
      - .actual_access:  read_only
        .address_space:  global
        .offset:         16
        .size:           8
        .value_kind:     global_buffer
      - .actual_access:  read_only
        .address_space:  global
        .offset:         24
        .size:           8
        .value_kind:     global_buffer
      - .actual_access:  read_only
        .address_space:  global
        .offset:         32
        .size:           8
        .value_kind:     global_buffer
      - .actual_access:  read_only
        .address_space:  global
        .offset:         40
        .size:           8
        .value_kind:     global_buffer
      - .offset:         48
        .size:           4
        .value_kind:     by_value
      - .offset:         52
        .size:           4
        .value_kind:     by_value
      - .offset:         56
        .size:           4
        .value_kind:     hidden_block_count_x
      - .offset:         60
        .size:           4
        .value_kind:     hidden_block_count_y
      - .offset:         64
        .size:           4
        .value_kind:     hidden_block_count_z
      - .offset:         68
        .size:           2
        .value_kind:     hidden_group_size_x
      - .offset:         70
        .size:           2
        .value_kind:     hidden_group_size_y
      - .offset:         72
        .size:           2
        .value_kind:     hidden_group_size_z
      - .offset:         74
        .size:           2
        .value_kind:     hidden_remainder_x
      - .offset:         76
        .size:           2
        .value_kind:     hidden_remainder_y
      - .offset:         78
        .size:           2
        .value_kind:     hidden_remainder_z
      - .offset:         96
        .size:           8
        .value_kind:     hidden_global_offset_x
      - .offset:         104
        .size:           8
        .value_kind:     hidden_global_offset_y
      - .offset:         112
        .size:           8
        .value_kind:     hidden_global_offset_z
      - .offset:         120
        .size:           2
        .value_kind:     hidden_grid_dims
      - .offset:         176
        .size:           4
        .value_kind:     hidden_dynamic_lds_size
    .group_segment_fixed_size: 0
    .kernarg_segment_align: 8
    .kernarg_segment_size: 312
    .language:       OpenCL C
    .language_version:
      - 2
      - 0
    .max_flat_workgroup_size: 1024
    .name:           _ZN2at6native12_GLOBAL__N_131weight_norm_bwd_last_dim_kernelIN3c104HalfEfEEvPT_S6_PKS5_S8_S8_PKT0_ii
    .private_segment_fixed_size: 0
    .sgpr_count:     22
    .sgpr_spill_count: 0
    .symbol:         _ZN2at6native12_GLOBAL__N_131weight_norm_bwd_last_dim_kernelIN3c104HalfEfEEvPT_S6_PKS5_S8_S8_PKT0_ii.kd
    .uniform_work_group_size: 1
    .uses_dynamic_stack: false
    .vgpr_count:     12
    .vgpr_spill_count: 0
    .wavefront_size: 32
    .workgroup_processor_mode: 1
amdhsa.target:   amdgcn-amd-amdhsa--gfx1100
amdhsa.version:
  - 1
  - 2
...

	.end_amdgpu_metadata
